;; amdgpu-corpus repo=ROCm/rocFFT kind=compiled arch=gfx1030 opt=O3
	.text
	.amdgcn_target "amdgcn-amd-amdhsa--gfx1030"
	.amdhsa_code_object_version 6
	.protected	bluestein_single_back_len1458_dim1_half_op_CI_CI ; -- Begin function bluestein_single_back_len1458_dim1_half_op_CI_CI
	.globl	bluestein_single_back_len1458_dim1_half_op_CI_CI
	.p2align	8
	.type	bluestein_single_back_len1458_dim1_half_op_CI_CI,@function
bluestein_single_back_len1458_dim1_half_op_CI_CI: ; @bluestein_single_back_len1458_dim1_half_op_CI_CI
; %bb.0:
	s_load_dwordx4 s[12:15], s[4:5], 0x28
	v_mul_u32_u24_e32 v1, 0x10e, v0
	v_mov_b32_e32 v2, 0
	s_mov_b32 s0, exec_lo
	v_lshrrev_b32_e32 v3, 16, v1
	v_add_nc_u32_e32 v1, s6, v3
	s_waitcnt lgkmcnt(0)
	v_cmpx_gt_u64_e64 s[12:13], v[1:2]
	s_cbranch_execz .LBB0_2
; %bb.1:
	s_clause 0x1
	s_load_dwordx4 s[0:3], s[4:5], 0x18
	s_load_dwordx4 s[8:11], s[4:5], 0x0
	v_mul_lo_u16 v2, 0xf3, v3
	v_mov_b32_e32 v16, 0xaaab
	s_load_dwordx2 s[4:5], s[4:5], 0x38
	v_sub_nc_u16 v12, v0, v2
	v_and_b32_e32 v31, 0xffff, v12
	v_lshlrev_b32_e32 v30, 2, v31
	s_waitcnt lgkmcnt(0)
	s_load_dwordx4 s[16:19], s[0:1], 0x0
	s_clause 0x1
	global_load_dword v24, v30, s[8:9]
	global_load_dword v25, v30, s[8:9] offset:972
	v_add_co_u32 v33, s0, s8, v30
	v_add_co_ci_u32_e64 v34, null, s9, 0, s0
	v_add_nc_u32_e32 v32, 0x780, v30
	s_waitcnt lgkmcnt(0)
	v_mad_u64_u32 v[2:3], null, s18, v1, 0
	v_mad_u64_u32 v[4:5], null, s16, v31, 0
	s_mul_i32 s0, s17, 0x3cc
	s_mul_hi_u32 s1, s16, 0x3cc
	s_mul_i32 s6, s16, 0x3cc
	s_add_i32 s1, s1, s0
	v_mov_b32_e32 v0, v3
	v_mov_b32_e32 v3, v5
	v_mad_u64_u32 v[5:6], null, s19, v1, v[0:1]
	v_mad_u64_u32 v[6:7], null, s17, v31, v[3:4]
	v_mov_b32_e32 v3, v5
	v_mov_b32_e32 v5, v6
	v_lshlrev_b64 v[2:3], 2, v[2:3]
	v_lshlrev_b64 v[4:5], 2, v[4:5]
	v_add_co_u32 v0, vcc_lo, s14, v2
	v_add_co_ci_u32_e32 v3, vcc_lo, s15, v3, vcc_lo
	v_add_co_u32 v2, vcc_lo, v0, v4
	v_add_co_ci_u32_e32 v3, vcc_lo, v3, v5, vcc_lo
	v_add_nc_u32_e32 v0, 0xf00, v30
	v_add_co_u32 v4, vcc_lo, v2, s6
	v_add_co_ci_u32_e32 v5, vcc_lo, s1, v3, vcc_lo
	s_clause 0x1
	global_load_dword v13, v[2:3], off
	global_load_dword v14, v[4:5], off
	v_add_co_u32 v2, vcc_lo, v4, s6
	v_add_co_ci_u32_e32 v3, vcc_lo, s1, v5, vcc_lo
	v_add_co_u32 v6, vcc_lo, 0x800, v33
	v_add_co_ci_u32_e32 v7, vcc_lo, 0, v34, vcc_lo
	;; [unrolled: 2-line block ×4, first 2 shown]
	global_load_dword v15, v[2:3], off
	s_clause 0x1
	global_load_dword v27, v30, s[8:9] offset:1944
	global_load_dword v26, v[6:7], off offset:868
	s_clause 0x1
	global_load_dword v8, v[8:9], off
	global_load_dword v9, v[4:5], off
	v_add_co_u32 v2, vcc_lo, v4, s6
	v_add_co_ci_u32_e32 v3, vcc_lo, s1, v5, vcc_lo
	v_add_co_u32 v10, vcc_lo, 0x1000, v33
	v_add_co_ci_u32_e32 v11, vcc_lo, 0, v34, vcc_lo
	global_load_dword v2, v[2:3], off
	s_clause 0x1
	global_load_dword v28, v[6:7], off offset:1840
	global_load_dword v29, v[10:11], off offset:764
	s_load_dwordx4 s[0:3], s[2:3], 0x0
	v_cmp_gt_u16_e32 vcc_lo, 0xa2, v12
	s_waitcnt lgkmcnt(0)
	s_mul_hi_u32 s24, s0, 0x3cc
	s_mul_i32 s23, s0, 0x3cc
	s_waitcnt vmcnt(9)
	v_lshrrev_b32_e32 v3, 16, v13
	v_mul_f16_sdwa v4, v24, v13 dst_sel:DWORD dst_unused:UNUSED_PAD src0_sel:WORD_1 src1_sel:DWORD
	s_waitcnt vmcnt(8)
	v_lshrrev_b32_e32 v6, 16, v14
	v_mul_f16_sdwa v7, v25, v14 dst_sel:DWORD dst_unused:UNUSED_PAD src0_sel:WORD_1 src1_sel:DWORD
	v_mul_f16_sdwa v5, v24, v3 dst_sel:DWORD dst_unused:UNUSED_PAD src0_sel:WORD_1 src1_sel:DWORD
	v_fma_f16 v3, v24, v3, -v4
	v_fmac_f16_e32 v5, v24, v13
	v_mul_f16_sdwa v13, v25, v6 dst_sel:DWORD dst_unused:UNUSED_PAD src0_sel:WORD_1 src1_sel:DWORD
	v_fma_f16 v6, v25, v6, -v7
	v_pack_b32_f16 v3, v5, v3
	v_fmac_f16_e32 v13, v25, v14
	s_waitcnt vmcnt(7)
	v_lshrrev_b32_e32 v4, 16, v15
	s_waitcnt vmcnt(6)
	v_mul_f16_sdwa v7, v27, v15 dst_sel:DWORD dst_unused:UNUSED_PAD src0_sel:WORD_1 src1_sel:DWORD
	s_waitcnt vmcnt(4)
	v_lshrrev_b32_e32 v14, 16, v8
	v_mul_f16_sdwa v5, v27, v4 dst_sel:DWORD dst_unused:UNUSED_PAD src0_sel:WORD_1 src1_sel:DWORD
	v_fma_f16 v4, v27, v4, -v7
	v_mul_f16_sdwa v7, v26, v8 dst_sel:DWORD dst_unused:UNUSED_PAD src0_sel:WORD_1 src1_sel:DWORD
	v_mul_f16_sdwa v17, v26, v14 dst_sel:DWORD dst_unused:UNUSED_PAD src0_sel:WORD_1 src1_sel:DWORD
	v_fmac_f16_e32 v5, v27, v15
	s_waitcnt vmcnt(3)
	v_lshrrev_b32_e32 v15, 16, v9
	s_waitcnt vmcnt(2)
	v_lshrrev_b32_e32 v18, 16, v2
	v_fma_f16 v7, v26, v14, -v7
	s_waitcnt vmcnt(1)
	v_mul_f16_sdwa v14, v28, v9 dst_sel:DWORD dst_unused:UNUSED_PAD src0_sel:WORD_1 src1_sel:DWORD
	s_waitcnt vmcnt(0)
	v_mul_f16_sdwa v20, v29, v2 dst_sel:DWORD dst_unused:UNUSED_PAD src0_sel:WORD_1 src1_sel:DWORD
	v_mul_f16_sdwa v19, v28, v15 dst_sel:DWORD dst_unused:UNUSED_PAD src0_sel:WORD_1 src1_sel:DWORD
	;; [unrolled: 1-line block ×3, first 2 shown]
	v_fmac_f16_e32 v17, v26, v8
	v_fma_f16 v8, v28, v15, -v14
	v_pack_b32_f16 v4, v5, v4
	v_fmac_f16_e32 v19, v28, v9
	v_fma_f16 v9, v29, v18, -v20
	v_fmac_f16_e32 v21, v29, v2
	v_pack_b32_f16 v2, v13, v6
	v_pack_b32_f16 v5, v17, v7
	;; [unrolled: 1-line block ×3, first 2 shown]
	v_and_b32_e32 v19, 0xff, v12
	v_pack_b32_f16 v7, v21, v9
	ds_write2_b32 v30, v3, v2 offset1:243
	ds_write2_b32 v32, v4, v5 offset0:6 offset1:249
	ds_write2_b32 v0, v6, v7 offset0:12 offset1:255
	s_waitcnt lgkmcnt(0)
	s_barrier
	buffer_gl0_inv
	ds_read2_b32 v[2:3], v32 offset0:6 offset1:249
	ds_read2_b32 v[4:5], v0 offset0:12 offset1:255
	v_mul_lo_u16 v8, 0xab, v19
	v_add_co_u32 v13, null, 0xf3, v31
	ds_read2_b32 v[6:7], v30 offset1:243
	v_mov_b32_e32 v14, 2
	v_lshrrev_b16 v17, 10, v8
	v_mul_u32_u24_sdwa v8, v13, v16 dst_sel:DWORD dst_unused:UNUSED_PAD src0_sel:WORD_0 src1_sel:DWORD
	v_mul_lo_u16 v16, v12, 6
	s_waitcnt lgkmcnt(0)
	s_barrier
	v_mul_lo_u16 v9, v17, 6
	v_lshrrev_b32_e32 v18, 18, v8
	v_lshlrev_b32_sdwa v35, v14, v16 dst_sel:DWORD dst_unused:UNUSED_PAD src0_sel:DWORD src1_sel:WORD_0
	buffer_gl0_inv
	v_sub_nc_u16 v8, v12, v9
	v_mul_lo_u16 v9, v18, 6
	v_pk_add_f16 v15, v3, v5
	v_and_b32_e32 v20, 0xff, v8
	v_sub_nc_u16 v21, v13, v9
	v_pk_add_f16 v8, v3, v5 neg_lo:[0,1] neg_hi:[0,1]
	v_pk_add_f16 v22, v6, v2
	v_pk_fma_f16 v9, v15, 0.5, v7 op_sel_hi:[1,0,1] neg_lo:[1,0,0] neg_hi:[1,0,0]
	v_pk_add_f16 v3, v7, v3
	v_pk_add_f16 v7, v2, v4
	v_pk_add_f16 v2, v2, v4 neg_lo:[0,1] neg_hi:[0,1]
	v_pk_add_f16 v4, v22, v4
	v_pk_fma_f16 v23, 0x3aee, v8, v9 op_sel:[0,0,1] op_sel_hi:[0,1,0]
	v_pk_fma_f16 v8, 0x3aee, v8, v9 op_sel:[0,0,1] op_sel_hi:[0,1,0] neg_lo:[0,1,0] neg_hi:[0,1,0]
	v_pk_fma_f16 v6, v7, 0.5, v6 op_sel_hi:[1,0,1] neg_lo:[1,0,0] neg_hi:[1,0,0]
	v_pk_mul_f16 v2, 0x3aee, v2 op_sel_hi:[0,1]
	v_pk_add_f16 v3, v3, v5
	v_lshrrev_b32_e32 v9, 16, v23
	v_bfi_b32 v23, 0xffff, v23, v8
	v_mul_f16_e32 v5, 0x3aee, v8
	v_lshlrev_b16 v16, 1, v21
	v_pk_add_f16 v36, v6, v2 op_sel:[0,1] op_sel_hi:[1,0]
	v_mul_f16_e32 v7, 0xbaee, v9
	v_pk_mul_f16 v22, v23, 0.5 op_sel_hi:[1,0]
	v_pk_add_f16 v6, v6, v2 op_sel:[0,1] op_sel_hi:[1,0] neg_lo:[0,1] neg_hi:[0,1]
	v_fmac_f16_e32 v5, 0.5, v9
	v_lshlrev_b32_sdwa v9, v14, v16 dst_sel:DWORD dst_unused:UNUSED_PAD src0_sel:DWORD src1_sel:WORD_0
	v_fmac_f16_e32 v7, 0.5, v8
	v_pk_fma_f16 v8, 0xbaee3aee, v23, v22 op_sel:[0,0,1] op_sel_hi:[1,1,0] neg_lo:[0,0,1] neg_hi:[0,0,1]
	v_bfi_b32 v22, 0xffff, v6, v36
	v_add_f16_e32 v23, v36, v5
	v_lshlrev_b32_e32 v15, 3, v20
	v_pk_add_f16 v2, v4, v3
	v_pack_b32_f16 v16, v7, v8
	v_add_f16_sdwa v7, v6, v7 dst_sel:DWORD dst_unused:UNUSED_PAD src0_sel:WORD_1 src1_sel:DWORD
	v_sub_f16_sdwa v37, v36, v8 dst_sel:DWORD dst_unused:UNUSED_PAD src0_sel:WORD_1 src1_sel:WORD_1
	v_mad_u16 v18, v18, 18, v21
	v_pk_add_f16 v6, v6, v16 op_sel:[1,0] op_sel_hi:[0,1] neg_lo:[0,1] neg_hi:[0,1]
	v_sub_f16_e32 v16, v36, v5
	v_pk_add_f16 v5, v4, v3 neg_lo:[0,1] neg_hi:[0,1]
	v_pk_add_f16 v4, v22, v8
	v_pack_b32_f16 v3, v23, v7
	v_alignbit_b32 v7, v37, v6, 16
	v_pack_b32_f16 v6, v16, v6
	ds_write2_b64 v35, v[2:3], v[4:5] offset1:1
	ds_write_b64 v35, v[6:7] offset:16
	s_waitcnt lgkmcnt(0)
	s_barrier
	buffer_gl0_inv
	s_clause 0x1
	global_load_dwordx2 v[4:5], v15, s[10:11]
	global_load_dwordx2 v[2:3], v9, s[10:11]
	v_mov_b32_e32 v6, 0xe38f
	v_mul_lo_u16 v7, v19, 57
	v_mov_b32_e32 v36, 18
	v_mul_u32_u24_sdwa v6, v13, v6 dst_sel:DWORD dst_unused:UNUSED_PAD src0_sel:WORD_0 src1_sel:DWORD
	v_lshrrev_b16 v22, 10, v7
	v_mul_u32_u24_sdwa v17, v17, v36 dst_sel:DWORD dst_unused:UNUSED_PAD src0_sel:WORD_0 src1_sel:DWORD
	v_lshrrev_b32_e32 v23, 20, v6
	v_mul_lo_u16 v6, v22, 18
	v_add_lshl_u32 v36, v17, v20, 2
	v_mul_lo_u16 v7, v23, 18
	v_sub_nc_u16 v37, v12, v6
	v_sub_nc_u16 v38, v13, v7
	ds_read2_b32 v[6:7], v30 offset1:243
	ds_read2_b32 v[8:9], v32 offset0:6 offset1:249
	ds_read2_b32 v[15:16], v0 offset0:12 offset1:255
	v_and_b32_e32 v40, 0xff, v37
	v_lshlrev_b32_sdwa v37, v14, v18 dst_sel:DWORD dst_unused:UNUSED_PAD src0_sel:DWORD src1_sel:WORD_0
	s_waitcnt vmcnt(0) lgkmcnt(0)
	v_lshlrev_b16 v39, 3, v38
	s_barrier
	v_lshlrev_b32_e32 v20, 3, v40
	buffer_gl0_inv
	v_and_b32_e32 v21, 0xffff, v39
	v_add_co_u32 v17, s6, s10, v21
	v_add_co_ci_u32_e64 v18, null, s11, 0, s6
	v_lshrrev_b32_e32 v42, 16, v7
	v_lshrrev_b32_e32 v39, 16, v8
	;; [unrolled: 1-line block ×6, first 2 shown]
	v_mul_f16_sdwa v45, v39, v4 dst_sel:DWORD dst_unused:UNUSED_PAD src0_sel:DWORD src1_sel:WORD_1
	v_mul_f16_sdwa v46, v8, v4 dst_sel:DWORD dst_unused:UNUSED_PAD src0_sel:DWORD src1_sel:WORD_1
	;; [unrolled: 1-line block ×8, first 2 shown]
	v_fma_f16 v8, v8, v4, -v45
	v_fmac_f16_e32 v46, v39, v4
	v_fma_f16 v15, v15, v5, -v47
	v_fmac_f16_e32 v48, v41, v5
	;; [unrolled: 2-line block ×4, first 2 shown]
	v_add_f16_e32 v41, v8, v15
	v_add_f16_e32 v45, v46, v48
	;; [unrolled: 1-line block ×4, first 2 shown]
	v_sub_f16_e32 v49, v50, v52
	v_add_f16_e32 v50, v50, v52
	v_add_f16_e32 v39, v6, v8
	v_sub_f16_e32 v43, v46, v48
	v_add_f16_e32 v44, v21, v46
	v_sub_f16_e32 v8, v8, v15
	v_add_f16_e32 v46, v7, v9
	v_fma_f16 v6, -0.5, v41, v6
	v_fmac_f16_e32 v21, -0.5, v45
	v_sub_f16_e32 v9, v9, v16
	v_fmac_f16_e32 v7, -0.5, v47
	v_fmac_f16_e32 v42, -0.5, v50
	v_add_f16_e32 v15, v39, v15
	v_add_f16_e32 v39, v44, v48
	v_add_f16_e32 v16, v46, v16
	v_add_f16_e32 v41, v51, v52
	v_fmamk_f16 v44, v43, 0x3aee, v6
	v_fmac_f16_e32 v6, 0xbaee, v43
	v_fmamk_f16 v43, v8, 0xbaee, v21
	v_fmac_f16_e32 v21, 0x3aee, v8
	v_fmamk_f16 v8, v49, 0x3aee, v7
	v_fmamk_f16 v45, v9, 0xbaee, v42
	v_fmac_f16_e32 v7, 0xbaee, v49
	v_fmac_f16_e32 v42, 0x3aee, v9
	v_pack_b32_f16 v9, v15, v39
	v_pack_b32_f16 v15, v16, v41
	;; [unrolled: 1-line block ×6, first 2 shown]
	ds_write2_b32 v36, v9, v16 offset1:6
	ds_write_b32 v36, v6 offset:48
	ds_write2_b32 v37, v15, v8 offset1:6
	ds_write_b32 v37, v7 offset:48
	s_waitcnt lgkmcnt(0)
	s_barrier
	buffer_gl0_inv
	s_clause 0x1
	global_load_dwordx2 v[6:7], v20, s[10:11] offset:48
	global_load_dwordx2 v[8:9], v[17:18], off offset:48
	v_mov_b32_e32 v15, 0x97b5
	v_lshrrev_b16 v16, 1, v13
	v_mul_lo_u16 v17, v19, 19
	v_mov_b32_e32 v21, 54
	v_mul_u32_u24_sdwa v15, v16, v15 dst_sel:DWORD dst_unused:UNUSED_PAD src0_sel:WORD_0 src1_sel:DWORD
	v_lshrrev_b16 v44, 10, v17
	v_mul_u32_u24_sdwa v21, v22, v21 dst_sel:DWORD dst_unused:UNUSED_PAD src0_sel:WORD_0 src1_sel:DWORD
	v_mad_u16 v22, v23, 54, v38
	v_lshrrev_b32_e32 v48, 20, v15
	v_mul_lo_u16 v15, v44, 54
	v_add_lshl_u32 v38, v21, v40, 2
	v_mul_lo_u16 v16, v48, 54
	v_sub_nc_u16 v39, v12, v15
	v_sub_nc_u16 v49, v13, v16
	ds_read2_b32 v[15:16], v30 offset1:243
	ds_read2_b32 v[17:18], v32 offset0:6 offset1:249
	ds_read2_b32 v[19:20], v0 offset0:12 offset1:255
	v_and_b32_e32 v50, 0xff, v39
	v_lshlrev_b32_sdwa v39, v14, v22 dst_sel:DWORD dst_unused:UNUSED_PAD src0_sel:DWORD src1_sel:WORD_0
	s_waitcnt vmcnt(0) lgkmcnt(0)
	v_lshlrev_b16 v41, 3, v49
	s_barrier
	v_lshlrev_b32_e32 v40, 3, v50
	buffer_gl0_inv
	v_and_b32_e32 v23, 0xffff, v41
	v_add_co_u32 v21, s6, s10, v23
	v_add_co_ci_u32_e64 v22, null, s11, 0, s6
	v_lshrrev_b32_e32 v43, 16, v16
	v_lshrrev_b32_e32 v41, 16, v17
	;; [unrolled: 1-line block ×6, first 2 shown]
	v_mul_f16_sdwa v47, v41, v6 dst_sel:DWORD dst_unused:UNUSED_PAD src0_sel:DWORD src1_sel:WORD_1
	v_mul_f16_sdwa v51, v17, v6 dst_sel:DWORD dst_unused:UNUSED_PAD src0_sel:DWORD src1_sel:WORD_1
	;; [unrolled: 1-line block ×8, first 2 shown]
	v_fma_f16 v17, v17, v6, -v47
	v_fmac_f16_e32 v51, v41, v6
	v_fma_f16 v19, v19, v7, -v52
	v_fmac_f16_e32 v53, v42, v7
	;; [unrolled: 2-line block ×4, first 2 shown]
	v_add_f16_e32 v42, v17, v19
	v_add_f16_e32 v47, v51, v53
	;; [unrolled: 1-line block ×4, first 2 shown]
	v_sub_f16_e32 v54, v55, v57
	v_add_f16_e32 v55, v55, v57
	v_add_f16_e32 v41, v15, v17
	v_sub_f16_e32 v45, v51, v53
	v_add_f16_e32 v46, v23, v51
	v_sub_f16_e32 v17, v17, v19
	v_add_f16_e32 v51, v16, v18
	v_fma_f16 v15, -0.5, v42, v15
	v_fmac_f16_e32 v23, -0.5, v47
	v_sub_f16_e32 v18, v18, v20
	v_fmac_f16_e32 v16, -0.5, v52
	v_fmac_f16_e32 v43, -0.5, v55
	v_add_f16_e32 v19, v41, v19
	v_add_f16_e32 v41, v46, v53
	v_add_f16_e32 v20, v51, v20
	v_add_f16_e32 v42, v56, v57
	v_fmamk_f16 v46, v45, 0x3aee, v15
	v_fmac_f16_e32 v15, 0xbaee, v45
	v_fmamk_f16 v45, v17, 0xbaee, v23
	v_fmac_f16_e32 v23, 0x3aee, v17
	v_fmamk_f16 v17, v54, 0x3aee, v16
	v_fmamk_f16 v47, v18, 0xbaee, v43
	v_fmac_f16_e32 v16, 0xbaee, v54
	v_fmac_f16_e32 v43, 0x3aee, v18
	v_pack_b32_f16 v18, v19, v41
	v_pack_b32_f16 v19, v20, v42
	v_pack_b32_f16 v20, v46, v45
	v_pack_b32_f16 v15, v15, v23
	v_pack_b32_f16 v17, v17, v47
	v_pack_b32_f16 v16, v16, v43
	ds_write2_b32 v38, v18, v20 offset1:18
	ds_write_b32 v38, v15 offset:144
	ds_write2_b32 v39, v19, v17 offset1:18
	ds_write_b32 v39, v16 offset:144
	s_waitcnt lgkmcnt(0)
	s_barrier
	buffer_gl0_inv
	s_clause 0x1
	global_load_dwordx2 v[16:17], v40, s[10:11] offset:192
	global_load_dwordx2 v[18:19], v[21:22], off offset:192
	v_add_co_u32 v22, s6, 0xffffff5e, v31
	v_add_co_ci_u32_e64 v20, null, 0, -1, s6
	v_mov_b32_e32 v15, 0x6523
	v_cndmask_b32_e32 v41, v22, v31, vcc_lo
	ds_read2_b32 v[22:23], v0 offset0:12 offset1:255
	v_cndmask_b32_e64 v42, v20, 0, vcc_lo
	ds_read2_b32 v[20:21], v32 offset0:6 offset1:249
	v_mul_u32_u24_sdwa v15, v13, v15 dst_sel:DWORD dst_unused:UNUSED_PAD src0_sel:WORD_0 src1_sel:DWORD
	v_mov_b32_e32 v40, 0xa2
	ds_read2_b32 v[46:47], v30 offset1:243
	v_lshlrev_b64 v[42:43], 3, v[41:42]
	s_waitcnt vmcnt(0) lgkmcnt(0)
	v_lshrrev_b32_e32 v15, 22, v15
	v_mul_u32_u24_sdwa v40, v44, v40 dst_sel:DWORD dst_unused:UNUSED_PAD src0_sel:WORD_0 src1_sel:DWORD
	s_barrier
	buffer_gl0_inv
	v_add_co_u32 v44, vcc_lo, s10, v42
	v_mul_lo_u16 v45, 0xa2, v15
	v_add_lshl_u32 v40, v40, v50, 2
	v_sub_nc_u16 v51, v13, v45
	v_add_co_ci_u32_e32 v45, vcc_lo, s11, v43, vcc_lo
	v_mad_u16 v43, 0xa2, v48, v49
	v_lshrrev_b32_e32 v48, 16, v20
	v_lshrrev_b32_e32 v49, 16, v21
	;; [unrolled: 1-line block ×5, first 2 shown]
	v_lshlrev_b16 v42, 3, v51
	v_lshlrev_b32_sdwa v43, v14, v43 dst_sel:DWORD dst_unused:UNUSED_PAD src0_sel:DWORD src1_sel:WORD_0
	v_cmp_lt_u16_e32 vcc_lo, 0xa1, v12
	v_mad_u16 v15, 0x1e6, v15, v51
	v_lshlrev_b32_e32 v13, 3, v13
	v_and_b32_e32 v42, 0xffff, v42
	v_cndmask_b32_e64 v12, 0, 0x1e6, vcc_lo
	v_mul_f16_sdwa v53, v48, v16 dst_sel:DWORD dst_unused:UNUSED_PAD src0_sel:DWORD src1_sel:WORD_1
	v_mul_f16_sdwa v54, v49, v18 dst_sel:DWORD dst_unused:UNUSED_PAD src0_sel:DWORD src1_sel:WORD_1
	;; [unrolled: 1-line block ×5, first 2 shown]
	v_fma_f16 v20, v20, v16, -v53
	v_fma_f16 v53, v21, v18, -v54
	v_mul_f16_sdwa v21, v21, v18 dst_sel:DWORD dst_unused:UNUSED_PAD src0_sel:DWORD src1_sel:WORD_1
	v_mul_f16_sdwa v54, v52, v19 dst_sel:DWORD dst_unused:UNUSED_PAD src0_sel:DWORD src1_sel:WORD_1
	v_fmac_f16_e32 v55, v48, v16
	v_fmac_f16_e32 v57, v50, v17
	v_mul_f16_sdwa v48, v23, v19 dst_sel:DWORD dst_unused:UNUSED_PAD src0_sel:DWORD src1_sel:WORD_1
	v_lshrrev_b32_e32 v50, 16, v46
	v_fma_f16 v22, v22, v17, -v56
	v_fmac_f16_e32 v21, v49, v18
	v_fma_f16 v23, v23, v19, -v54
	v_add_f16_e32 v49, v46, v20
	v_add_f16_e32 v56, v55, v57
	v_fmac_f16_e32 v48, v52, v19
	v_add_f16_e32 v52, v20, v22
	v_add_f16_e32 v54, v50, v55
	v_sub_f16_e32 v20, v20, v22
	v_add_f16_e32 v49, v49, v22
	v_add_f16_e32 v22, v47, v53
	v_fmac_f16_e32 v50, -0.5, v56
	v_add_f16_e32 v56, v53, v23
	v_sub_f16_e32 v55, v55, v57
	v_add_f16_e32 v54, v54, v57
	v_add_f16_e32 v57, v22, v23
	;; [unrolled: 1-line block ×3, first 2 shown]
	v_fmac_f16_e32 v47, -0.5, v56
	v_sub_f16_e32 v56, v21, v48
	v_add_f16_e32 v21, v21, v48
	v_fma_f16 v46, -0.5, v52, v46
	v_sub_f16_e32 v53, v53, v23
	v_add_f16_e32 v48, v22, v48
	v_add_co_u32 v22, s6, s10, v42
	v_fmac_f16_e32 v58, -0.5, v21
	v_fmamk_f16 v21, v55, 0x3aee, v46
	v_fmamk_f16 v42, v20, 0xbaee, v50
	v_fmac_f16_e32 v46, 0xbaee, v55
	v_fmac_f16_e32 v50, 0x3aee, v20
	v_fmamk_f16 v20, v56, 0x3aee, v47
	v_fmamk_f16 v52, v53, 0xbaee, v58
	v_fmac_f16_e32 v47, 0xbaee, v56
	v_fmac_f16_e32 v58, 0x3aee, v53
	v_pack_b32_f16 v49, v49, v54
	v_pack_b32_f16 v21, v21, v42
	v_add_co_ci_u32_e64 v23, null, s11, 0, s6
	v_pack_b32_f16 v42, v46, v50
	v_pack_b32_f16 v48, v57, v48
	;; [unrolled: 1-line block ×4, first 2 shown]
	ds_write2_b32 v40, v49, v21 offset1:54
	ds_write_b32 v40, v42 offset:432
	ds_write2_b32 v43, v48, v20 offset1:54
	ds_write_b32 v43, v46 offset:432
	s_waitcnt lgkmcnt(0)
	s_barrier
	buffer_gl0_inv
	s_clause 0x1
	global_load_dwordx2 v[20:21], v[44:45], off offset:624
	global_load_dwordx2 v[22:23], v[22:23], off offset:624
	ds_read2_b32 v[44:45], v30 offset1:243
	ds_read2_b32 v[46:47], v32 offset0:6 offset1:249
	ds_read2_b32 v[48:49], v0 offset0:12 offset1:255
	v_add_lshl_u32 v42, v41, v12, 2
	v_lshlrev_b32_sdwa v41, v14, v15 dst_sel:DWORD dst_unused:UNUSED_PAD src0_sel:DWORD src1_sel:WORD_0
	v_lshlrev_b32_e32 v50, 3, v31
	s_waitcnt vmcnt(0) lgkmcnt(0)
	s_barrier
	buffer_gl0_inv
	v_lshrrev_b32_e32 v12, 16, v44
	v_lshrrev_b32_e32 v14, 16, v46
	;; [unrolled: 1-line block ×6, first 2 shown]
	v_mul_f16_sdwa v54, v14, v20 dst_sel:DWORD dst_unused:UNUSED_PAD src0_sel:DWORD src1_sel:WORD_1
	v_mul_f16_sdwa v55, v15, v22 dst_sel:DWORD dst_unused:UNUSED_PAD src0_sel:DWORD src1_sel:WORD_1
	;; [unrolled: 1-line block ×5, first 2 shown]
	v_fma_f16 v46, v46, v20, -v54
	v_fma_f16 v54, v47, v22, -v55
	v_mul_f16_sdwa v47, v47, v22 dst_sel:DWORD dst_unused:UNUSED_PAD src0_sel:DWORD src1_sel:WORD_1
	v_mul_f16_sdwa v55, v53, v23 dst_sel:DWORD dst_unused:UNUSED_PAD src0_sel:DWORD src1_sel:WORD_1
	v_fmac_f16_e32 v56, v14, v20
	v_mul_f16_sdwa v14, v49, v23 dst_sel:DWORD dst_unused:UNUSED_PAD src0_sel:DWORD src1_sel:WORD_1
	v_fmac_f16_e32 v58, v51, v21
	v_fma_f16 v48, v48, v21, -v57
	v_fmac_f16_e32 v47, v15, v22
	v_fma_f16 v15, v49, v23, -v55
	v_fmac_f16_e32 v14, v53, v23
	v_add_f16_e32 v49, v44, v46
	v_sub_f16_e32 v53, v56, v58
	v_add_f16_e32 v55, v12, v56
	v_add_f16_e32 v56, v56, v58
	;; [unrolled: 1-line block ×3, first 2 shown]
	v_sub_f16_e32 v46, v46, v48
	v_add_f16_e32 v48, v49, v48
	v_add_f16_e32 v49, v54, v15
	;; [unrolled: 1-line block ×3, first 2 shown]
	v_sub_f16_e32 v58, v47, v14
	v_fmac_f16_e32 v12, -0.5, v56
	v_add_f16_e32 v56, v52, v47
	v_add_f16_e32 v47, v47, v14
	;; [unrolled: 1-line block ×3, first 2 shown]
	v_fma_f16 v44, -0.5, v51, v44
	v_sub_f16_e32 v54, v54, v15
	v_fmac_f16_e32 v45, -0.5, v49
	v_fmac_f16_e32 v52, -0.5, v47
	v_add_f16_e32 v15, v57, v15
	v_add_f16_e32 v14, v56, v14
	v_fmamk_f16 v47, v53, 0x3aee, v44
	v_fmamk_f16 v49, v46, 0xbaee, v12
	v_fmac_f16_e32 v44, 0xbaee, v53
	v_fmac_f16_e32 v12, 0x3aee, v46
	v_fmamk_f16 v46, v58, 0x3aee, v45
	v_fmamk_f16 v51, v54, 0xbaee, v52
	v_fmac_f16_e32 v45, 0xbaee, v58
	v_fmac_f16_e32 v52, 0x3aee, v54
	v_pack_b32_f16 v48, v48, v55
	v_pack_b32_f16 v14, v15, v14
	;; [unrolled: 1-line block ×6, first 2 shown]
	ds_write2_b32 v42, v48, v15 offset1:162
	ds_write_b32 v42, v12 offset:1296
	ds_write2_b32 v41, v14, v44 offset1:162
	ds_write_b32 v41, v45 offset:1296
	s_waitcnt lgkmcnt(0)
	s_barrier
	buffer_gl0_inv
	s_clause 0x1
	global_load_dwordx2 v[14:15], v50, s[10:11] offset:1920
	global_load_dwordx2 v[12:13], v13, s[10:11] offset:1920
	ds_read2_b32 v[44:45], v32 offset0:6 offset1:249
	ds_read2_b32 v[46:47], v0 offset0:12 offset1:255
	ds_read2_b32 v[48:49], v30 offset1:243
	s_waitcnt lgkmcnt(2)
	v_lshrrev_b32_e32 v50, 16, v44
	v_lshrrev_b32_e32 v51, 16, v45
	s_waitcnt lgkmcnt(1)
	v_lshrrev_b32_e32 v52, 16, v46
	v_lshrrev_b32_e32 v53, 16, v47
	s_waitcnt vmcnt(1)
	v_mul_f16_sdwa v54, v50, v14 dst_sel:DWORD dst_unused:UNUSED_PAD src0_sel:DWORD src1_sel:WORD_1
	s_waitcnt vmcnt(0)
	v_mul_f16_sdwa v55, v51, v12 dst_sel:DWORD dst_unused:UNUSED_PAD src0_sel:DWORD src1_sel:WORD_1
	v_mul_f16_sdwa v56, v44, v14 dst_sel:DWORD dst_unused:UNUSED_PAD src0_sel:DWORD src1_sel:WORD_1
	v_mul_f16_sdwa v58, v46, v15 dst_sel:DWORD dst_unused:UNUSED_PAD src0_sel:DWORD src1_sel:WORD_1
	v_mul_f16_sdwa v57, v52, v15 dst_sel:DWORD dst_unused:UNUSED_PAD src0_sel:DWORD src1_sel:WORD_1
	v_fma_f16 v44, v44, v14, -v54
	v_fma_f16 v54, v45, v12, -v55
	v_mul_f16_sdwa v55, v53, v13 dst_sel:DWORD dst_unused:UNUSED_PAD src0_sel:DWORD src1_sel:WORD_1
	v_fmac_f16_e32 v56, v50, v14
	v_fmac_f16_e32 v58, v52, v15
	v_mul_f16_sdwa v45, v45, v12 dst_sel:DWORD dst_unused:UNUSED_PAD src0_sel:DWORD src1_sel:WORD_1
	s_waitcnt lgkmcnt(0)
	v_lshrrev_b32_e32 v52, 16, v48
	v_mul_f16_sdwa v50, v47, v13 dst_sel:DWORD dst_unused:UNUSED_PAD src0_sel:DWORD src1_sel:WORD_1
	v_fma_f16 v46, v46, v15, -v57
	v_fma_f16 v47, v47, v13, -v55
	v_add_f16_e32 v57, v56, v58
	v_fmac_f16_e32 v45, v51, v12
	v_add_f16_e32 v51, v48, v44
	v_add_f16_e32 v55, v52, v56
	v_fmac_f16_e32 v50, v53, v13
	v_fmac_f16_e32 v52, -0.5, v57
	v_add_f16_e32 v57, v54, v47
	v_add_f16_e32 v53, v44, v46
	v_sub_f16_e32 v44, v44, v46
	v_add_f16_e32 v46, v51, v46
	v_lshrrev_b32_e32 v51, 16, v49
	v_sub_f16_e32 v56, v56, v58
	v_add_f16_e32 v55, v55, v58
	v_add_f16_e32 v58, v49, v54
	v_fmac_f16_e32 v49, -0.5, v57
	v_add_f16_e32 v57, v45, v50
	v_fma_f16 v48, -0.5, v53, v48
	v_sub_f16_e32 v54, v54, v47
	v_add_f16_e32 v47, v58, v47
	v_add_f16_e32 v58, v51, v45
	v_sub_f16_e32 v45, v45, v50
	v_fmac_f16_e32 v51, -0.5, v57
	v_fmamk_f16 v53, v56, 0x3aee, v48
	v_fmac_f16_e32 v48, 0xbaee, v56
	v_fmamk_f16 v56, v44, 0xbaee, v52
	v_fmac_f16_e32 v52, 0x3aee, v44
	v_add_f16_e32 v50, v58, v50
	v_fmamk_f16 v57, v45, 0x3aee, v49
	v_fmamk_f16 v58, v54, 0xbaee, v51
	v_fmac_f16_e32 v49, 0xbaee, v45
	v_fmac_f16_e32 v51, 0x3aee, v54
	v_add_co_u32 v44, vcc_lo, 0x16c8, v33
	v_pack_b32_f16 v53, v53, v56
	v_add_co_ci_u32_e32 v45, vcc_lo, 0, v34, vcc_lo
	v_pack_b32_f16 v48, v48, v52
	v_pack_b32_f16 v46, v46, v55
	;; [unrolled: 1-line block ×5, first 2 shown]
	ds_write_b32 v30, v53 offset:1944
	ds_write_b32 v30, v48 offset:3888
	ds_write2_b32 v30, v46, v47 offset1:243
	ds_write_b32 v30, v50 offset:2916
	ds_write_b32 v30, v49 offset:4860
	s_waitcnt lgkmcnt(0)
	s_barrier
	buffer_gl0_inv
	s_clause 0x1
	global_load_dword v46, v[10:11], off offset:1736
	global_load_dword v47, v[44:45], off offset:972
	v_add_co_u32 v10, vcc_lo, 0x2000, v33
	v_add_co_ci_u32_e32 v11, vcc_lo, 0, v34, vcc_lo
	v_add_co_u32 v33, vcc_lo, 0x2800, v33
	v_add_co_ci_u32_e32 v34, vcc_lo, 0, v34, vcc_lo
	s_clause 0x3
	global_load_dword v44, v[44:45], off offset:1944
	global_load_dword v45, v[10:11], off offset:556
	;; [unrolled: 1-line block ×4, first 2 shown]
	ds_read2_b32 v[10:11], v30 offset1:243
	s_waitcnt lgkmcnt(0)
	v_lshrrev_b32_e32 v33, 16, v10
	v_lshrrev_b32_e32 v34, 16, v11
	s_waitcnt vmcnt(5)
	v_mul_f16_sdwa v50, v33, v46 dst_sel:DWORD dst_unused:UNUSED_PAD src0_sel:DWORD src1_sel:WORD_1
	v_mul_f16_sdwa v51, v10, v46 dst_sel:DWORD dst_unused:UNUSED_PAD src0_sel:DWORD src1_sel:WORD_1
	s_waitcnt vmcnt(4)
	v_mul_f16_sdwa v52, v34, v47 dst_sel:DWORD dst_unused:UNUSED_PAD src0_sel:DWORD src1_sel:WORD_1
	v_mul_f16_sdwa v53, v11, v47 dst_sel:DWORD dst_unused:UNUSED_PAD src0_sel:DWORD src1_sel:WORD_1
	v_fma_f16 v10, v10, v46, -v50
	v_fmac_f16_e32 v51, v33, v46
	v_fma_f16 v11, v11, v47, -v52
	v_fmac_f16_e32 v53, v34, v47
	v_pack_b32_f16 v10, v10, v51
	v_pack_b32_f16 v11, v11, v53
	ds_write2_b32 v30, v10, v11 offset1:243
	ds_read2_b32 v[10:11], v32 offset0:6 offset1:249
	ds_read2_b32 v[33:34], v0 offset0:12 offset1:255
	s_waitcnt lgkmcnt(1)
	v_lshrrev_b32_e32 v46, 16, v10
	s_waitcnt vmcnt(3)
	v_mul_f16_sdwa v47, v10, v44 dst_sel:DWORD dst_unused:UNUSED_PAD src0_sel:DWORD src1_sel:WORD_1
	v_lshrrev_b32_e32 v50, 16, v11
	s_waitcnt vmcnt(2)
	v_mul_f16_sdwa v51, v11, v45 dst_sel:DWORD dst_unused:UNUSED_PAD src0_sel:DWORD src1_sel:WORD_1
	s_waitcnt lgkmcnt(0)
	v_lshrrev_b32_e32 v52, 16, v33
	s_waitcnt vmcnt(1)
	v_mul_f16_sdwa v53, v33, v48 dst_sel:DWORD dst_unused:UNUSED_PAD src0_sel:DWORD src1_sel:WORD_1
	v_lshrrev_b32_e32 v54, 16, v34
	v_mul_f16_sdwa v56, v46, v44 dst_sel:DWORD dst_unused:UNUSED_PAD src0_sel:DWORD src1_sel:WORD_1
	v_fmac_f16_e32 v47, v46, v44
	v_mul_f16_sdwa v46, v50, v45 dst_sel:DWORD dst_unused:UNUSED_PAD src0_sel:DWORD src1_sel:WORD_1
	s_waitcnt vmcnt(0)
	v_mul_f16_sdwa v55, v34, v49 dst_sel:DWORD dst_unused:UNUSED_PAD src0_sel:DWORD src1_sel:WORD_1
	v_fmac_f16_e32 v51, v50, v45
	v_mul_f16_sdwa v50, v52, v48 dst_sel:DWORD dst_unused:UNUSED_PAD src0_sel:DWORD src1_sel:WORD_1
	v_fmac_f16_e32 v53, v52, v48
	v_mul_f16_sdwa v52, v54, v49 dst_sel:DWORD dst_unused:UNUSED_PAD src0_sel:DWORD src1_sel:WORD_1
	v_fma_f16 v10, v10, v44, -v56
	v_fma_f16 v11, v11, v45, -v46
	v_fmac_f16_e32 v55, v54, v49
	v_fma_f16 v33, v33, v48, -v50
	v_fma_f16 v34, v34, v49, -v52
	v_pack_b32_f16 v10, v10, v47
	v_pack_b32_f16 v11, v11, v51
	;; [unrolled: 1-line block ×4, first 2 shown]
	ds_write2_b32 v32, v10, v11 offset0:6 offset1:249
	ds_write2_b32 v0, v33, v34 offset0:12 offset1:255
	s_waitcnt lgkmcnt(0)
	s_barrier
	buffer_gl0_inv
	ds_read2_b32 v[10:11], v32 offset0:6 offset1:249
	ds_read2_b32 v[33:34], v0 offset0:12 offset1:255
	ds_read2_b32 v[44:45], v30 offset1:243
	s_waitcnt lgkmcnt(0)
	s_barrier
	buffer_gl0_inv
	v_pk_add_f16 v46, v11, v34
	v_pk_add_f16 v48, v10, v33
	v_pk_add_f16 v49, v11, v34 neg_lo:[0,1] neg_hi:[0,1]
	v_pk_add_f16 v11, v45, v11
	v_pk_add_f16 v47, v44, v10
	v_pk_fma_f16 v46, v46, 0.5, v45 op_sel_hi:[1,0,1] neg_lo:[1,0,0] neg_hi:[1,0,0]
	v_pk_add_f16 v10, v10, v33 neg_lo:[0,1] neg_hi:[0,1]
	v_pk_fma_f16 v44, v48, 0.5, v44 op_sel_hi:[1,0,1] neg_lo:[1,0,0] neg_hi:[1,0,0]
	v_pk_add_f16 v11, v11, v34
	v_pk_add_f16 v33, v47, v33
	v_pk_fma_f16 v45, 0x3aee, v49, v46 op_sel:[0,0,1] op_sel_hi:[0,1,0] neg_lo:[0,1,0] neg_hi:[0,1,0]
	v_pk_fma_f16 v34, 0x3aee, v49, v46 op_sel:[0,0,1] op_sel_hi:[0,1,0]
	v_pk_fma_f16 v46, 0x3aee, v10, v44 op_sel:[0,0,1] op_sel_hi:[0,1,0] neg_lo:[0,1,0] neg_hi:[0,1,0]
	v_pk_fma_f16 v44, 0x3aee, v10, v44 op_sel:[0,0,1] op_sel_hi:[0,1,0]
	v_pk_mul_f16 v10, 0x3aee, v45 op_sel_hi:[0,1]
	v_lshrrev_b32_e32 v47, 16, v45
	v_lshrrev_b32_e32 v48, 16, v34
	v_mul_f16_e32 v45, -0.5, v45
	v_mul_f16_e32 v49, 0xbaee, v34
	v_pk_fma_f16 v50, 0xb8003800, v34, v10 op_sel:[0,0,1] op_sel_hi:[1,1,0]
	v_pk_fma_f16 v34, 0xb8003800, v34, v10 op_sel:[0,0,1] op_sel_hi:[1,1,0] neg_lo:[0,0,1] neg_hi:[0,0,1]
	v_alignbit_b32 v51, v46, v44, 16
	v_fmac_f16_e32 v45, 0x3aee, v48
	v_fmac_f16_e32 v49, 0.5, v47
	v_alignbit_b32 v47, v44, v46, 16
	v_bfi_b32 v48, 0xffff, v50, v34
	v_pk_add_f16 v10, v33, v11
	v_add_f16_e32 v52, v46, v45
	v_pack_b32_f16 v50, v49, v50
	v_alignbit_b32 v45, v45, v34, 16
	v_pk_add_f16 v48, v44, v48
	v_add_f16_sdwa v46, v46, v49 dst_sel:DWORD dst_unused:UNUSED_PAD src0_sel:WORD_1 src1_sel:DWORD
	v_pk_add_f16 v34, v33, v11 neg_lo:[0,1] neg_hi:[0,1]
	v_pk_add_f16 v44, v47, v50 neg_lo:[0,1] neg_hi:[0,1]
	;; [unrolled: 1-line block ×3, first 2 shown]
	v_alignbit_b32 v33, v52, v48, 16
	v_pack_b32_f16 v11, v46, v48
	ds_write_b64 v35, v[44:45] offset:16
	ds_write2_b64 v35, v[10:11], v[33:34] offset1:1
	s_waitcnt lgkmcnt(0)
	s_barrier
	buffer_gl0_inv
	ds_read2_b32 v[10:11], v30 offset1:243
	ds_read2_b32 v[33:34], v32 offset0:6 offset1:249
	ds_read2_b32 v[44:45], v0 offset0:12 offset1:255
	s_waitcnt lgkmcnt(0)
	s_barrier
	buffer_gl0_inv
	v_lshrrev_b32_e32 v35, 16, v10
	v_lshrrev_b32_e32 v46, 16, v33
	;; [unrolled: 1-line block ×3, first 2 shown]
	v_mul_f16_sdwa v51, v4, v33 dst_sel:DWORD dst_unused:UNUSED_PAD src0_sel:WORD_1 src1_sel:DWORD
	v_lshrrev_b32_e32 v49, 16, v34
	v_lshrrev_b32_e32 v50, 16, v45
	v_mul_f16_sdwa v52, v5, v44 dst_sel:DWORD dst_unused:UNUSED_PAD src0_sel:WORD_1 src1_sel:DWORD
	v_mul_f16_sdwa v53, v2, v34 dst_sel:DWORD dst_unused:UNUSED_PAD src0_sel:WORD_1 src1_sel:DWORD
	;; [unrolled: 1-line block ×4, first 2 shown]
	v_fma_f16 v46, v4, v46, -v51
	v_mul_f16_sdwa v51, v5, v47 dst_sel:DWORD dst_unused:UNUSED_PAD src0_sel:WORD_1 src1_sel:DWORD
	v_fma_f16 v47, v5, v47, -v52
	v_mul_f16_sdwa v52, v2, v49 dst_sel:DWORD dst_unused:UNUSED_PAD src0_sel:WORD_1 src1_sel:DWORD
	;; [unrolled: 2-line block ×3, first 2 shown]
	v_fma_f16 v50, v3, v50, -v54
	v_fmac_f16_e32 v55, v4, v33
	v_fmac_f16_e32 v51, v5, v44
	v_fmac_f16_e32 v52, v2, v34
	v_fmac_f16_e32 v53, v3, v45
	v_add_f16_e32 v3, v35, v46
	v_lshrrev_b32_e32 v48, 16, v11
	v_add_f16_e32 v4, v46, v47
	v_add_f16_e32 v34, v49, v50
	;; [unrolled: 1-line block ×3, first 2 shown]
	v_sub_f16_e32 v2, v46, v47
	v_add_f16_e32 v3, v3, v47
	v_add_f16_e32 v47, v52, v53
	;; [unrolled: 1-line block ×4, first 2 shown]
	v_fmac_f16_e32 v35, -0.5, v4
	v_sub_f16_e32 v4, v55, v51
	v_add_f16_e32 v46, v11, v52
	v_fmac_f16_e32 v48, -0.5, v34
	v_sub_f16_e32 v34, v52, v53
	v_fma_f16 v10, -0.5, v45, v10
	v_sub_f16_e32 v5, v49, v50
	v_fmac_f16_e32 v11, -0.5, v47
	v_add_f16_e32 v44, v44, v51
	v_fmamk_f16 v45, v4, 0x3aee, v35
	v_fmac_f16_e32 v35, 0xbaee, v4
	v_add_f16_e32 v4, v46, v53
	v_fmamk_f16 v46, v34, 0x3aee, v48
	v_fmac_f16_e32 v48, 0xbaee, v34
	v_fmamk_f16 v34, v2, 0xbaee, v10
	v_fmac_f16_e32 v10, 0x3aee, v2
	v_add_f16_e32 v33, v33, v50
	v_fmamk_f16 v2, v5, 0xbaee, v11
	v_fmac_f16_e32 v11, 0x3aee, v5
	v_pack_b32_f16 v3, v44, v3
	v_pack_b32_f16 v5, v34, v45
	;; [unrolled: 1-line block ×6, first 2 shown]
	ds_write2_b32 v36, v3, v5 offset1:6
	ds_write_b32 v36, v10 offset:48
	ds_write2_b32 v37, v4, v2 offset1:6
	ds_write_b32 v37, v11 offset:48
	s_waitcnt lgkmcnt(0)
	s_barrier
	buffer_gl0_inv
	ds_read2_b32 v[2:3], v30 offset1:243
	ds_read2_b32 v[4:5], v32 offset0:6 offset1:249
	ds_read2_b32 v[10:11], v0 offset0:12 offset1:255
	s_waitcnt lgkmcnt(0)
	s_barrier
	buffer_gl0_inv
	v_lshrrev_b32_e32 v33, 16, v2
	v_lshrrev_b32_e32 v34, 16, v4
	;; [unrolled: 1-line block ×3, first 2 shown]
	v_mul_f16_sdwa v45, v6, v4 dst_sel:DWORD dst_unused:UNUSED_PAD src0_sel:WORD_1 src1_sel:DWORD
	v_lshrrev_b32_e32 v37, 16, v5
	v_lshrrev_b32_e32 v44, 16, v11
	v_mul_f16_sdwa v46, v7, v10 dst_sel:DWORD dst_unused:UNUSED_PAD src0_sel:WORD_1 src1_sel:DWORD
	v_mul_f16_sdwa v47, v8, v5 dst_sel:DWORD dst_unused:UNUSED_PAD src0_sel:WORD_1 src1_sel:DWORD
	;; [unrolled: 1-line block ×4, first 2 shown]
	v_fma_f16 v34, v6, v34, -v45
	v_mul_f16_sdwa v45, v7, v35 dst_sel:DWORD dst_unused:UNUSED_PAD src0_sel:WORD_1 src1_sel:DWORD
	v_fma_f16 v35, v7, v35, -v46
	v_mul_f16_sdwa v46, v8, v37 dst_sel:DWORD dst_unused:UNUSED_PAD src0_sel:WORD_1 src1_sel:DWORD
	;; [unrolled: 2-line block ×3, first 2 shown]
	v_fma_f16 v44, v9, v44, -v48
	v_fmac_f16_e32 v49, v6, v4
	v_fmac_f16_e32 v45, v7, v10
	;; [unrolled: 1-line block ×4, first 2 shown]
	v_add_f16_e32 v5, v33, v34
	v_lshrrev_b32_e32 v36, 16, v3
	v_add_f16_e32 v6, v34, v35
	v_add_f16_e32 v9, v37, v44
	;; [unrolled: 1-line block ×3, first 2 shown]
	v_sub_f16_e32 v4, v34, v35
	v_add_f16_e32 v5, v5, v35
	v_add_f16_e32 v35, v46, v47
	;; [unrolled: 1-line block ×4, first 2 shown]
	v_fmac_f16_e32 v33, -0.5, v6
	v_sub_f16_e32 v6, v49, v45
	v_add_f16_e32 v34, v3, v46
	v_fmac_f16_e32 v36, -0.5, v9
	v_sub_f16_e32 v9, v46, v47
	v_fma_f16 v2, -0.5, v11, v2
	v_sub_f16_e32 v7, v37, v44
	v_fmac_f16_e32 v3, -0.5, v35
	v_add_f16_e32 v10, v10, v45
	v_fmamk_f16 v11, v6, 0x3aee, v33
	v_fmac_f16_e32 v33, 0xbaee, v6
	v_add_f16_e32 v6, v34, v47
	v_fmamk_f16 v34, v9, 0x3aee, v36
	v_fmac_f16_e32 v36, 0xbaee, v9
	v_fmamk_f16 v9, v4, 0xbaee, v2
	v_fmac_f16_e32 v2, 0x3aee, v4
	v_add_f16_e32 v8, v8, v44
	v_fmamk_f16 v4, v7, 0xbaee, v3
	v_fmac_f16_e32 v3, 0x3aee, v7
	v_pack_b32_f16 v5, v10, v5
	v_pack_b32_f16 v7, v9, v11
	;; [unrolled: 1-line block ×6, first 2 shown]
	ds_write2_b32 v38, v5, v7 offset1:18
	ds_write_b32 v38, v2 offset:144
	ds_write2_b32 v39, v6, v4 offset1:18
	ds_write_b32 v39, v3 offset:144
	s_waitcnt lgkmcnt(0)
	s_barrier
	buffer_gl0_inv
	ds_read2_b32 v[2:3], v30 offset1:243
	ds_read2_b32 v[4:5], v32 offset0:6 offset1:249
	ds_read2_b32 v[6:7], v0 offset0:12 offset1:255
	s_waitcnt lgkmcnt(0)
	s_barrier
	buffer_gl0_inv
	v_lshrrev_b32_e32 v8, 16, v2
	v_lshrrev_b32_e32 v9, 16, v4
	;; [unrolled: 1-line block ×3, first 2 shown]
	v_mul_f16_sdwa v35, v16, v4 dst_sel:DWORD dst_unused:UNUSED_PAD src0_sel:WORD_1 src1_sel:DWORD
	v_lshrrev_b32_e32 v33, 16, v5
	v_lshrrev_b32_e32 v34, 16, v7
	v_mul_f16_sdwa v36, v17, v6 dst_sel:DWORD dst_unused:UNUSED_PAD src0_sel:WORD_1 src1_sel:DWORD
	v_mul_f16_sdwa v37, v18, v5 dst_sel:DWORD dst_unused:UNUSED_PAD src0_sel:WORD_1 src1_sel:DWORD
	;; [unrolled: 1-line block ×4, first 2 shown]
	v_fma_f16 v9, v16, v9, -v35
	v_mul_f16_sdwa v35, v17, v10 dst_sel:DWORD dst_unused:UNUSED_PAD src0_sel:WORD_1 src1_sel:DWORD
	v_fma_f16 v10, v17, v10, -v36
	v_mul_f16_sdwa v36, v18, v33 dst_sel:DWORD dst_unused:UNUSED_PAD src0_sel:WORD_1 src1_sel:DWORD
	;; [unrolled: 2-line block ×3, first 2 shown]
	v_fma_f16 v34, v19, v34, -v38
	v_fmac_f16_e32 v39, v16, v4
	v_fmac_f16_e32 v35, v17, v6
	;; [unrolled: 1-line block ×4, first 2 shown]
	v_lshrrev_b32_e32 v11, 16, v3
	v_add_f16_e32 v5, v8, v9
	v_add_f16_e32 v6, v9, v10
	v_add_f16_e32 v16, v33, v34
	v_add_f16_e32 v18, v39, v35
	v_add_f16_e32 v19, v36, v37
	v_sub_f16_e32 v4, v9, v10
	v_add_f16_e32 v9, v11, v33
	v_add_f16_e32 v17, v2, v39
	;; [unrolled: 1-line block ×3, first 2 shown]
	v_fmac_f16_e32 v8, -0.5, v6
	v_sub_f16_e32 v6, v39, v35
	v_add_f16_e32 v10, v3, v36
	v_fmac_f16_e32 v11, -0.5, v16
	v_sub_f16_e32 v16, v36, v37
	v_fma_f16 v2, -0.5, v18, v2
	v_sub_f16_e32 v7, v33, v34
	v_fmac_f16_e32 v3, -0.5, v19
	v_add_f16_e32 v17, v17, v35
	v_fmamk_f16 v18, v6, 0x3aee, v8
	v_fmac_f16_e32 v8, 0xbaee, v6
	v_add_f16_e32 v6, v10, v37
	v_fmamk_f16 v10, v16, 0x3aee, v11
	v_fmac_f16_e32 v11, 0xbaee, v16
	v_fmamk_f16 v16, v4, 0xbaee, v2
	v_fmac_f16_e32 v2, 0x3aee, v4
	v_add_f16_e32 v9, v9, v34
	v_fmamk_f16 v4, v7, 0xbaee, v3
	v_fmac_f16_e32 v3, 0x3aee, v7
	v_pack_b32_f16 v5, v17, v5
	v_pack_b32_f16 v7, v16, v18
	;; [unrolled: 1-line block ×6, first 2 shown]
	ds_write2_b32 v40, v5, v7 offset1:54
	ds_write_b32 v40, v2 offset:432
	ds_write2_b32 v43, v6, v4 offset1:54
	ds_write_b32 v43, v3 offset:432
	s_waitcnt lgkmcnt(0)
	s_barrier
	buffer_gl0_inv
	ds_read2_b32 v[2:3], v30 offset1:243
	ds_read2_b32 v[4:5], v32 offset0:6 offset1:249
	ds_read2_b32 v[6:7], v0 offset0:12 offset1:255
	s_waitcnt lgkmcnt(0)
	s_barrier
	buffer_gl0_inv
	v_mad_u64_u32 v[8:9], null, s2, v1, 0
	v_lshrrev_b32_e32 v10, 16, v2
	v_lshrrev_b32_e32 v11, 16, v4
	;; [unrolled: 1-line block ×3, first 2 shown]
	v_mul_f16_sdwa v33, v20, v4 dst_sel:DWORD dst_unused:UNUSED_PAD src0_sel:WORD_1 src1_sel:DWORD
	v_lshrrev_b32_e32 v18, 16, v5
	v_lshrrev_b32_e32 v19, 16, v7
	v_mul_f16_sdwa v34, v21, v6 dst_sel:DWORD dst_unused:UNUSED_PAD src0_sel:WORD_1 src1_sel:DWORD
	v_mul_f16_sdwa v35, v22, v5 dst_sel:DWORD dst_unused:UNUSED_PAD src0_sel:WORD_1 src1_sel:DWORD
	;; [unrolled: 1-line block ×4, first 2 shown]
	v_fma_f16 v11, v20, v11, -v33
	v_mul_f16_sdwa v33, v21, v16 dst_sel:DWORD dst_unused:UNUSED_PAD src0_sel:WORD_1 src1_sel:DWORD
	v_fma_f16 v16, v21, v16, -v34
	v_mul_f16_sdwa v34, v22, v18 dst_sel:DWORD dst_unused:UNUSED_PAD src0_sel:WORD_1 src1_sel:DWORD
	;; [unrolled: 2-line block ×3, first 2 shown]
	v_lshrrev_b32_e32 v17, 16, v3
	v_fma_f16 v19, v23, v19, -v36
	v_fmac_f16_e32 v37, v20, v4
	v_fmac_f16_e32 v33, v21, v6
	;; [unrolled: 1-line block ×4, first 2 shown]
	v_sub_f16_e32 v4, v11, v16
	v_add_f16_e32 v5, v10, v11
	v_add_f16_e32 v6, v11, v16
	v_sub_f16_e32 v7, v18, v19
	v_add_f16_e32 v11, v17, v18
	v_add_f16_e32 v18, v18, v19
	;; [unrolled: 1-line block ×6, first 2 shown]
	v_fmac_f16_e32 v10, -0.5, v6
	v_sub_f16_e32 v6, v37, v33
	v_add_f16_e32 v16, v3, v34
	v_fmac_f16_e32 v17, -0.5, v18
	v_sub_f16_e32 v18, v34, v35
	v_fma_f16 v2, -0.5, v21, v2
	v_fmac_f16_e32 v3, -0.5, v22
	v_add_f16_e32 v11, v11, v19
	v_add_f16_e32 v19, v20, v33
	v_fmamk_f16 v20, v6, 0x3aee, v10
	v_fmac_f16_e32 v10, 0xbaee, v6
	v_add_f16_e32 v6, v16, v35
	v_fmamk_f16 v16, v18, 0x3aee, v17
	v_fmac_f16_e32 v17, 0xbaee, v18
	v_fmamk_f16 v18, v4, 0xbaee, v2
	v_fmac_f16_e32 v2, 0x3aee, v4
	;; [unrolled: 2-line block ×3, first 2 shown]
	v_pack_b32_f16 v5, v19, v5
	v_pack_b32_f16 v7, v18, v20
	;; [unrolled: 1-line block ×6, first 2 shown]
	ds_write2_b32 v42, v5, v7 offset1:162
	ds_write_b32 v42, v2 offset:1296
	ds_write2_b32 v41, v6, v4 offset1:162
	ds_write_b32 v41, v3 offset:1296
	s_waitcnt lgkmcnt(0)
	s_barrier
	buffer_gl0_inv
	ds_read2_b32 v[2:3], v30 offset1:243
	ds_read2_b32 v[4:5], v32 offset0:6 offset1:249
	ds_read2_b32 v[6:7], v0 offset0:12 offset1:255
	v_mad_u64_u32 v[10:11], null, s0, v31, 0
	v_mad_u64_u32 v[16:17], null, s3, v1, v[9:10]
	v_mov_b32_e32 v1, v11
	s_mov_b32 s2, 0xe0bf08c7
	s_mov_b32 s3, 0x3f467980
	v_mov_b32_e32 v9, v16
	s_waitcnt lgkmcnt(2)
	v_mad_u64_u32 v[17:18], null, s1, v31, v[1:2]
	s_waitcnt lgkmcnt(1)
	v_lshrrev_b32_e32 v11, 16, v4
	s_waitcnt lgkmcnt(0)
	v_lshrrev_b32_e32 v16, 16, v6
	v_mul_f16_sdwa v21, v14, v4 dst_sel:DWORD dst_unused:UNUSED_PAD src0_sel:WORD_1 src1_sel:DWORD
	v_lshrrev_b32_e32 v19, 16, v5
	v_lshrrev_b32_e32 v20, 16, v7
	v_mul_f16_sdwa v22, v15, v6 dst_sel:DWORD dst_unused:UNUSED_PAD src0_sel:WORD_1 src1_sel:DWORD
	v_mul_f16_sdwa v23, v12, v5 dst_sel:DWORD dst_unused:UNUSED_PAD src0_sel:WORD_1 src1_sel:DWORD
	;; [unrolled: 1-line block ×4, first 2 shown]
	v_fma_f16 v11, v14, v11, -v21
	v_mul_f16_sdwa v21, v15, v16 dst_sel:DWORD dst_unused:UNUSED_PAD src0_sel:WORD_1 src1_sel:DWORD
	v_lshrrev_b32_e32 v1, 16, v2
	v_fma_f16 v16, v15, v16, -v22
	v_mul_f16_sdwa v22, v12, v19 dst_sel:DWORD dst_unused:UNUSED_PAD src0_sel:WORD_1 src1_sel:DWORD
	v_fma_f16 v19, v12, v19, -v23
	v_mul_f16_sdwa v23, v13, v20 dst_sel:DWORD dst_unused:UNUSED_PAD src0_sel:WORD_1 src1_sel:DWORD
	v_fma_f16 v20, v13, v20, -v31
	v_fmac_f16_e32 v33, v14, v4
	v_fmac_f16_e32 v21, v15, v6
	;; [unrolled: 1-line block ×4, first 2 shown]
	v_add_f16_e32 v5, v1, v11
	v_lshrrev_b32_e32 v18, 16, v3
	v_add_f16_e32 v6, v11, v16
	v_add_f16_e32 v12, v19, v20
	;; [unrolled: 1-line block ×3, first 2 shown]
	v_sub_f16_e32 v4, v11, v16
	v_add_f16_e32 v5, v5, v16
	v_add_f16_e32 v16, v22, v23
	;; [unrolled: 1-line block ×4, first 2 shown]
	v_fmac_f16_e32 v1, -0.5, v6
	v_sub_f16_e32 v6, v33, v21
	v_add_f16_e32 v15, v3, v22
	v_fmac_f16_e32 v18, -0.5, v12
	v_sub_f16_e32 v12, v22, v23
	v_fma_f16 v2, -0.5, v14, v2
	v_sub_f16_e32 v7, v19, v20
	v_fmac_f16_e32 v3, -0.5, v16
	v_fmamk_f16 v14, v6, 0x3aee, v1
	v_fmac_f16_e32 v1, 0xbaee, v6
	v_add_f16_e32 v6, v15, v23
	v_fmamk_f16 v15, v12, 0x3aee, v18
	v_fmac_f16_e32 v18, 0xbaee, v12
	v_fmamk_f16 v12, v4, 0xbaee, v2
	v_fmac_f16_e32 v2, 0x3aee, v4
	v_add_f16_e32 v11, v11, v20
	v_add_f16_e32 v13, v13, v21
	v_fmamk_f16 v4, v7, 0xbaee, v3
	v_fmac_f16_e32 v3, 0x3aee, v7
	v_pack_b32_f16 v7, v12, v14
	v_pack_b32_f16 v1, v2, v1
	;; [unrolled: 1-line block ×6, first 2 shown]
	ds_write_b32 v30, v7 offset:1944
	ds_write_b32 v30, v1 offset:3888
	ds_write2_b32 v30, v5, v2 offset1:243
	ds_write_b32 v30, v4 offset:2916
	ds_write_b32 v30, v3 offset:4860
	s_waitcnt lgkmcnt(0)
	s_barrier
	buffer_gl0_inv
	ds_read2_b32 v[2:3], v30 offset1:243
	v_mov_b32_e32 v11, v17
	v_lshlrev_b64 v[6:7], 2, v[8:9]
	ds_read2_b32 v[4:5], v32 offset0:6 offset1:249
	ds_read2_b32 v[8:9], v0 offset0:12 offset1:255
	s_mulk_i32 s1, 0x3cc
	v_lshlrev_b64 v[0:1], 2, v[10:11]
	s_add_i32 s24, s24, s1
	v_add_co_u32 v6, vcc_lo, s4, v6
	v_add_co_ci_u32_e32 v7, vcc_lo, s5, v7, vcc_lo
	v_add_co_u32 v0, vcc_lo, v6, v0
	v_add_co_ci_u32_e32 v1, vcc_lo, v7, v1, vcc_lo
	s_waitcnt lgkmcnt(2)
	v_lshrrev_b32_e32 v6, 16, v2
	v_mul_f16_sdwa v7, v24, v2 dst_sel:DWORD dst_unused:UNUSED_PAD src0_sel:WORD_1 src1_sel:DWORD
	v_lshrrev_b32_e32 v10, 16, v3
	v_mul_f16_sdwa v11, v25, v3 dst_sel:DWORD dst_unused:UNUSED_PAD src0_sel:WORD_1 src1_sel:DWORD
	s_waitcnt lgkmcnt(1)
	v_lshrrev_b32_e32 v12, 16, v4
	v_mul_f16_sdwa v20, v24, v6 dst_sel:DWORD dst_unused:UNUSED_PAD src0_sel:WORD_1 src1_sel:DWORD
	v_fma_f16 v6, v24, v6, -v7
	v_mul_f16_sdwa v13, v27, v4 dst_sel:DWORD dst_unused:UNUSED_PAD src0_sel:WORD_1 src1_sel:DWORD
	v_lshrrev_b32_e32 v14, 16, v5
	v_mul_f16_sdwa v7, v25, v10 dst_sel:DWORD dst_unused:UNUSED_PAD src0_sel:WORD_1 src1_sel:DWORD
	v_fma_f16 v10, v25, v10, -v11
	v_fmac_f16_e32 v20, v24, v2
	v_cvt_f32_f16_e32 v2, v6
	v_mul_f16_sdwa v15, v26, v5 dst_sel:DWORD dst_unused:UNUSED_PAD src0_sel:WORD_1 src1_sel:DWORD
	v_mul_f16_sdwa v11, v27, v12 dst_sel:DWORD dst_unused:UNUSED_PAD src0_sel:WORD_1 src1_sel:DWORD
	v_fma_f16 v12, v27, v12, -v13
	v_mul_f16_sdwa v13, v26, v14 dst_sel:DWORD dst_unused:UNUSED_PAD src0_sel:WORD_1 src1_sel:DWORD
	v_fmac_f16_e32 v7, v25, v3
	v_cvt_f32_f16_e32 v6, v10
	v_cvt_f64_f32_e32 v[2:3], v2
	s_waitcnt lgkmcnt(0)
	v_lshrrev_b32_e32 v16, 16, v8
	v_mul_f16_sdwa v17, v28, v8 dst_sel:DWORD dst_unused:UNUSED_PAD src0_sel:WORD_1 src1_sel:DWORD
	v_lshrrev_b32_e32 v18, 16, v9
	v_mul_f16_sdwa v19, v29, v9 dst_sel:DWORD dst_unused:UNUSED_PAD src0_sel:WORD_1 src1_sel:DWORD
	v_fma_f16 v14, v26, v14, -v15
	v_fmac_f16_e32 v11, v27, v4
	v_cvt_f32_f16_e32 v10, v12
	v_fmac_f16_e32 v13, v26, v5
	v_cvt_f64_f32_e32 v[4:5], v6
	v_mul_f16_sdwa v15, v28, v16 dst_sel:DWORD dst_unused:UNUSED_PAD src0_sel:WORD_1 src1_sel:DWORD
	v_fma_f16 v16, v28, v16, -v17
	v_mul_f16_sdwa v17, v29, v18 dst_sel:DWORD dst_unused:UNUSED_PAD src0_sel:WORD_1 src1_sel:DWORD
	v_fma_f16 v18, v29, v18, -v19
	v_cvt_f32_f16_e32 v12, v14
	v_cvt_f32_f16_e32 v19, v7
	v_cvt_f64_f32_e32 v[6:7], v10
	v_fmac_f16_e32 v15, v28, v8
	v_cvt_f32_f16_e32 v14, v16
	v_fmac_f16_e32 v17, v29, v9
	v_cvt_f64_f32_e32 v[8:9], v12
	v_cvt_f32_f16_e32 v16, v18
	v_cvt_f32_f16_e32 v18, v20
	;; [unrolled: 1-line block ×3, first 2 shown]
	v_cvt_f64_f32_e32 v[10:11], v14
	v_mul_f64 v[2:3], v[2:3], s[2:3]
	v_cvt_f32_f16_e32 v21, v13
	v_cvt_f64_f32_e32 v[12:13], v16
	v_cvt_f32_f16_e32 v22, v15
	v_cvt_f64_f32_e32 v[14:15], v18
	v_add_co_u32 v26, vcc_lo, v0, s23
	v_mul_f64 v[4:5], v[4:5], s[2:3]
	v_add_co_ci_u32_e32 v27, vcc_lo, s24, v1, vcc_lo
	v_cvt_f32_f16_e32 v24, v17
	v_cvt_f64_f32_e32 v[16:17], v19
	v_add_co_u32 v28, vcc_lo, v26, s23
	v_mul_f64 v[6:7], v[6:7], s[2:3]
	v_add_co_ci_u32_e32 v29, vcc_lo, s24, v27, vcc_lo
	v_mul_f64 v[8:9], v[8:9], s[2:3]
	v_add_co_u32 v30, vcc_lo, v28, s23
	v_add_co_ci_u32_e32 v31, vcc_lo, s24, v29, vcc_lo
	v_mul_f64 v[10:11], v[10:11], s[2:3]
	v_and_or_b32 v2, 0x1ff, v3, v2
	v_mul_f64 v[12:13], v[12:13], s[2:3]
	v_lshrrev_b32_e32 v32, 8, v3
	v_bfe_u32 v33, v3, 20, 11
	v_lshrrev_b32_e32 v34, 16, v3
	v_cmp_ne_u32_e32 vcc_lo, 0, v2
	v_and_or_b32 v3, 0x1ff, v5, v4
	v_cvt_f64_f32_e32 v[18:19], v20
	v_lshrrev_b32_e32 v4, 8, v5
	v_bfe_u32 v35, v5, 20, 11
	v_lshrrev_b32_e32 v36, 16, v5
	v_cndmask_b32_e64 v2, 0, 1, vcc_lo
	v_cmp_ne_u32_e32 vcc_lo, 0, v3
	v_and_or_b32 v5, 0x1ff, v7, v6
	v_mul_f64 v[14:15], v[14:15], s[2:3]
	v_cvt_f64_f32_e32 v[20:21], v21
	v_and_or_b32 v8, 0x1ff, v9, v8
	v_cndmask_b32_e64 v3, 0, 1, vcc_lo
	v_cmp_ne_u32_e32 vcc_lo, 0, v5
	v_mul_f64 v[16:17], v[16:17], s[2:3]
	v_lshrrev_b32_e32 v38, 8, v9
	v_and_or_b32 v10, 0x1ff, v11, v10
	v_bfe_u32 v39, v9, 20, 11
	v_cndmask_b32_e64 v5, 0, 1, vcc_lo
	v_cmp_ne_u32_e32 vcc_lo, 0, v8
	v_and_or_b32 v12, 0x1ff, v13, v12
	v_sub_nc_u32_e32 v49, 0x3f1, v35
	v_and_or_b32 v57, 0xffe, v4, v3
	v_cvt_f64_f32_e32 v[22:23], v22
	v_cndmask_b32_e64 v8, 0, 1, vcc_lo
	v_cmp_ne_u32_e32 vcc_lo, 0, v10
	v_mul_f64 v[18:19], v[18:19], s[2:3]
	v_sub_nc_u32_e32 v54, 0x3f1, v39
	v_med3_i32 v10, v49, 0, 13
	v_and_or_b32 v8, 0xffe, v38, v8
	v_cndmask_b32_e64 v3, 0, 1, vcc_lo
	v_or_b32_e32 v38, 0x1000, v57
	v_cmp_ne_u32_e32 vcc_lo, 0, v12
	v_cvt_f64_f32_e32 v[24:25], v24
	v_lshrrev_b32_e32 v40, 8, v11
	v_bfe_u32 v41, v11, 20, 11
	v_lshrrev_b32_e32 v42, 8, v13
	v_and_or_b32 v14, 0x1ff, v15, v14
	v_cndmask_b32_e64 v12, 0, 1, vcc_lo
	v_med3_i32 v54, v54, 0, 13
	v_lshrrev_b32_e32 v58, v10, v38
	v_or_b32_e32 v59, 0x1000, v8
	v_mul_f64 v[20:21], v[20:21], s[2:3]
	v_bfe_u32 v43, v13, 20, 11
	v_and_or_b32 v16, 0x1ff, v17, v16
	v_sub_nc_u32_e32 v4, 0x3f1, v41
	v_cmp_ne_u32_e32 vcc_lo, 0, v14
	v_and_or_b32 v40, 0xffe, v40, v3
	v_lshlrev_b32_e32 v3, v10, v58
	v_and_or_b32 v10, 0xffe, v42, v12
	v_lshrrev_b32_e32 v12, v54, v59
	v_lshrrev_b32_e32 v44, 8, v15
	v_bfe_u32 v45, v15, 20, 11
	v_sub_nc_u32_e32 v49, 0x3f1, v43
	v_cndmask_b32_e64 v14, 0, 1, vcc_lo
	v_med3_i32 v4, v4, 0, 13
	v_cmp_ne_u32_e32 vcc_lo, v3, v38
	v_or_b32_e32 v3, 0x1000, v40
	v_lshlrev_b32_e32 v38, v54, v12
	v_cmp_ne_u32_e64 s0, 0, v16
	v_mul_f64 v[22:23], v[22:23], s[2:3]
	v_lshrrev_b32_e32 v47, 8, v17
	v_bfe_u32 v48, v17, 20, 11
	v_and_or_b32 v18, 0x1ff, v19, v18
	v_sub_nc_u32_e32 v42, 0x3f1, v45
	v_cndmask_b32_e64 v16, 0, 1, s0
	v_med3_i32 v49, v49, 0, 13
	v_or_b32_e32 v54, 0x1000, v10
	v_cmp_ne_u32_e64 s0, v38, v59
	v_lshrrev_b32_e32 v38, v4, v3
	v_and_or_b32 v14, 0xffe, v44, v14
	v_mul_f64 v[24:25], v[24:25], s[2:3]
	v_sub_nc_u32_e32 v59, 0x3f1, v48
	v_med3_i32 v42, v42, 0, 13
	v_lshrrev_b32_e32 v44, v49, v54
	v_lshlrev_b32_e32 v4, v4, v38
	v_and_or_b32 v16, 0xffe, v47, v16
	v_or_b32_e32 v47, 0x1000, v14
	v_cmp_ne_u32_e64 s2, 0, v18
	v_lshrrev_b32_e32 v50, 8, v19
	v_bfe_u32 v51, v19, 20, 11
	v_and_or_b32 v20, 0x1ff, v21, v20
	v_med3_i32 v59, v59, 0, 13
	v_lshlrev_b32_e32 v49, v49, v44
	v_cmp_ne_u32_e64 s1, v4, v3
	v_or_b32_e32 v3, 0x1000, v16
	v_lshrrev_b32_e32 v4, v42, v47
	v_cndmask_b32_e64 v18, 0, 1, s2
	v_cmp_ne_u32_e64 s2, v49, v54
	v_sub_nc_u32_e32 v49, 0x3f1, v51
	v_lshrrev_b32_e32 v54, v59, v3
	v_lshlrev_b32_e32 v42, v42, v4
	v_and_or_b32 v18, 0xffe, v50, v18
	v_cmp_ne_u32_e64 s4, 0, v20
	v_lshrrev_b32_e32 v52, 8, v21
	v_bfe_u32 v53, v21, 20, 11
	v_and_or_b32 v22, 0x1ff, v23, v22
	v_med3_i32 v49, v49, 0, 13
	v_lshlrev_b32_e32 v50, v59, v54
	v_cmp_ne_u32_e64 s3, v42, v47
	v_or_b32_e32 v42, 0x1000, v18
	v_cndmask_b32_e64 v20, 0, 1, s4
	v_and_or_b32 v24, 0x1ff, v25, v24
	v_cmp_ne_u32_e64 s4, v50, v3
	v_sub_nc_u32_e32 v59, 0x3f1, v53
	v_lshrrev_b32_e32 v3, v49, v42
	v_and_or_b32 v20, 0xffe, v52, v20
	v_cmp_ne_u32_e64 s5, 0, v22
	v_lshrrev_b32_e32 v55, 8, v23
	v_bfe_u32 v56, v23, 20, 11
	v_lshlrev_b32_e32 v49, v49, v3
	v_med3_i32 v52, v59, 0, 13
	v_cndmask_b32_e64 v22, 0, 1, s5
	v_or_b32_e32 v59, 0x1000, v20
	v_cmp_ne_u32_e64 s6, 0, v24
	v_lshrrev_b32_e32 v47, 8, v25
	v_bfe_u32 v50, v25, 20, 11
	v_cmp_ne_u32_e64 s5, v49, v42
	v_sub_nc_u32_e32 v42, 0x3f1, v56
	v_cndmask_b32_e64 v24, 0, 1, s6
	v_lshrrev_b32_e32 v49, v52, v59
	v_and_or_b32 v22, 0xffe, v55, v22
	v_sub_nc_u32_e32 v55, 0x3f1, v50
	v_med3_i32 v42, v42, 0, 13
	v_and_or_b32 v24, 0xffe, v47, v24
	v_lshlrev_b32_e32 v47, v52, v49
	v_or_b32_e32 v52, 0x1000, v22
	v_lshrrev_b32_e32 v6, 8, v7
	v_and_or_b32 v32, 0xffe, v32, v2
	v_med3_i32 v2, v55, 0, 13
	v_or_b32_e32 v55, 0x1000, v24
	v_cmp_ne_u32_e64 s6, v47, v59
	v_lshrrev_b32_e32 v47, v42, v52
	v_bfe_u32 v37, v7, 20, 11
	v_sub_nc_u32_e32 v46, 0x3f1, v33
	v_and_or_b32 v6, 0xffe, v6, v5
	v_lshrrev_b32_e32 v5, v2, v55
	v_lshlrev_b32_e32 v42, v42, v47
	v_sub_nc_u32_e32 v59, 0x3f1, v37
	v_med3_i32 v46, v46, 0, 13
	v_add_nc_u32_e32 v33, 0xfffffc10, v33
	v_lshlrev_b32_e32 v2, v2, v5
	v_cmp_ne_u32_e64 s7, v42, v52
	v_or_b32_e32 v42, 0x1000, v32
	v_med3_i32 v52, v59, 0, 13
	v_or_b32_e32 v59, 0x1000, v6
	v_cmp_ne_u32_e64 s8, v2, v55
	v_add_nc_u32_e32 v35, 0xfffffc10, v35
	v_lshrrev_b32_e32 v2, v46, v42
	v_add_nc_u32_e32 v37, 0xfffffc10, v37
	v_lshrrev_b32_e32 v55, v52, v59
	v_add_nc_u32_e32 v39, 0xfffffc10, v39
	v_add_nc_u32_e32 v41, 0xfffffc10, v41
	v_lshlrev_b32_e32 v46, v46, v2
	v_add_nc_u32_e32 v43, 0xfffffc10, v43
	v_lshlrev_b32_e32 v52, v52, v55
	v_add_nc_u32_e32 v45, 0xfffffc10, v45
	v_add_nc_u32_e32 v48, 0xfffffc10, v48
	v_cmp_ne_u32_e64 s9, v46, v42
	v_cndmask_b32_e64 v46, 0, 1, vcc_lo
	v_cmp_ne_u32_e32 vcc_lo, v52, v59
	v_lshl_or_b32 v52, v33, 12, v32
	v_add_nc_u32_e32 v51, 0xfffffc10, v51
	v_cndmask_b32_e64 v42, 0, 1, s9
	v_or_b32_e32 v46, v58, v46
	v_cndmask_b32_e64 v59, 0, 1, vcc_lo
	v_cndmask_b32_e64 v58, 0, 1, s1
	v_cmp_gt_i32_e32 vcc_lo, 1, v33
	v_or_b32_e32 v2, v2, v42
	v_cndmask_b32_e64 v42, 0, 1, s0
	v_or_b32_e32 v55, v55, v59
	v_cndmask_b32_e64 v59, 0, 1, s2
	v_or_b32_e32 v38, v38, v58
	v_lshl_or_b32 v58, v35, 12, v57
	v_or_b32_e32 v12, v12, v42
	v_cndmask_b32_e64 v42, 0, 1, s3
	v_cndmask_b32_e32 v52, v52, v2, vcc_lo
	v_cmp_gt_i32_e32 vcc_lo, 1, v35
	v_or_b32_e32 v44, v44, v59
	v_cndmask_b32_e64 v59, 0, 1, s4
	v_or_b32_e32 v4, v4, v42
	v_lshl_or_b32 v42, v37, 12, v6
	v_cndmask_b32_e32 v46, v58, v46, vcc_lo
	v_cmp_gt_i32_e32 vcc_lo, 1, v37
	v_cndmask_b32_e64 v2, 0, 1, s5
	v_or_b32_e32 v54, v54, v59
	v_lshl_or_b32 v59, v39, 12, v8
	v_cndmask_b32_e64 v58, 0, 1, s6
	v_cndmask_b32_e32 v42, v42, v55, vcc_lo
	v_cmp_gt_i32_e32 vcc_lo, 1, v39
	v_or_b32_e32 v2, v3, v2
	v_lshl_or_b32 v3, v41, 12, v40
	v_cndmask_b32_e64 v55, 0, 1, s7
	v_or_b32_e32 v49, v49, v58
	v_cndmask_b32_e32 v12, v59, v12, vcc_lo
	v_cmp_gt_i32_e32 vcc_lo, 1, v41
	v_lshl_or_b32 v58, v43, 12, v10
	v_or_b32_e32 v47, v47, v55
	v_lshl_or_b32 v55, v45, 12, v14
	v_cndmask_b32_e64 v59, 0, 1, s8
	v_cndmask_b32_e32 v38, v3, v38, vcc_lo
	v_cmp_gt_i32_e32 vcc_lo, 1, v43
	v_lshl_or_b32 v3, v48, 12, v16
	v_add_nc_u32_e32 v53, 0xfffffc10, v53
	v_or_b32_e32 v5, v5, v59
	v_lshl_or_b32 v59, v51, 12, v18
	v_cndmask_b32_e32 v44, v58, v44, vcc_lo
	v_cmp_gt_i32_e32 vcc_lo, 1, v45
	v_add_nc_u32_e32 v56, 0xfffffc10, v56
	v_lshl_or_b32 v58, v53, 12, v20
	v_add_nc_u32_e32 v50, 0xfffffc10, v50
	v_lshrrev_b32_e32 v7, 16, v7
	v_cndmask_b32_e32 v55, v55, v4, vcc_lo
	v_cmp_gt_i32_e32 vcc_lo, 1, v48
	v_lshl_or_b32 v4, v56, 12, v22
	v_lshrrev_b32_e32 v9, 16, v9
	v_lshrrev_b32_e32 v13, 16, v13
	v_lshrrev_b32_e32 v15, 16, v15
	v_cndmask_b32_e32 v54, v3, v54, vcc_lo
	v_cmp_gt_i32_e32 vcc_lo, 1, v51
	v_lshl_or_b32 v3, v50, 12, v24
	v_lshrrev_b32_e32 v17, 16, v17
	v_lshrrev_b32_e32 v19, 16, v19
	;; [unrolled: 1-line block ×3, first 2 shown]
	v_cndmask_b32_e32 v59, v59, v2, vcc_lo
	v_cmp_gt_i32_e32 vcc_lo, 1, v53
	v_and_b32_e32 v2, 7, v52
	v_lshrrev_b32_e32 v52, 2, v52
	v_lshrrev_b32_e32 v23, 16, v23
	;; [unrolled: 1-line block ×3, first 2 shown]
	v_cndmask_b32_e32 v49, v58, v49, vcc_lo
	v_cmp_gt_i32_e32 vcc_lo, 1, v56
	v_and_b32_e32 v58, 7, v46
	v_cmp_eq_u32_e64 s0, 3, v2
	v_lshrrev_b32_e32 v46, 2, v46
	v_lshrrev_b32_e32 v11, 16, v11
	v_cndmask_b32_e32 v47, v4, v47, vcc_lo
	v_cmp_gt_i32_e32 vcc_lo, 1, v50
	v_and_b32_e32 v4, 7, v42
	v_cmp_lt_i32_e64 s1, 5, v58
	v_cmp_eq_u32_e64 s2, 3, v58
	v_lshrrev_b32_e32 v42, 2, v42
	v_cndmask_b32_e32 v60, v3, v5, vcc_lo
	v_cmp_lt_i32_e32 vcc_lo, 5, v2
	v_and_b32_e32 v3, 7, v12
	v_cmp_lt_i32_e64 s3, 5, v4
	v_cmp_eq_u32_e64 s4, 3, v4
	v_and_b32_e32 v2, 7, v38
	s_or_b32 vcc_lo, s0, vcc_lo
	v_cmp_lt_i32_e64 s5, 5, v3
	v_add_co_ci_u32_e32 v52, vcc_lo, 0, v52, vcc_lo
	s_or_b32 vcc_lo, s2, s1
	v_cmp_eq_u32_e64 s6, 3, v3
	v_and_b32_e32 v5, 7, v44
	v_add_co_ci_u32_e32 v46, vcc_lo, 0, v46, vcc_lo
	v_lshrrev_b32_e32 v12, 2, v12
	s_or_b32 vcc_lo, s4, s3
	v_cmp_lt_i32_e64 s7, 5, v2
	v_cmp_eq_u32_e64 s8, 3, v2
	v_and_b32_e32 v4, 7, v55
	v_add_co_ci_u32_e32 v42, vcc_lo, 0, v42, vcc_lo
	v_lshrrev_b32_e32 v38, 2, v38
	s_or_b32 vcc_lo, s6, s5
	v_cmp_lt_i32_e64 s9, 5, v5
	v_cmp_eq_u32_e64 s10, 3, v5
	v_add_co_ci_u32_e32 v12, vcc_lo, 0, v12, vcc_lo
	v_lshrrev_b32_e32 v44, 2, v44
	s_or_b32 vcc_lo, s8, s7
	v_cmp_lt_i32_e64 s11, 5, v4
	v_cmp_eq_u32_e64 s12, 3, v4
	v_add_co_ci_u32_e32 v38, vcc_lo, 0, v38, vcc_lo
	v_lshrrev_b32_e32 v55, 2, v55
	s_or_b32 vcc_lo, s10, s9
	v_and_b32_e32 v3, 7, v54
	v_add_co_ci_u32_e32 v44, vcc_lo, 0, v44, vcc_lo
	s_or_b32 vcc_lo, s12, s11
	v_lshrrev_b32_e32 v54, 2, v54
	v_add_co_ci_u32_e32 v55, vcc_lo, 0, v55, vcc_lo
	v_cmp_lt_i32_e64 s13, 5, v3
	v_cmp_eq_u32_e64 s14, 3, v3
	v_cmp_gt_i32_e32 vcc_lo, 31, v33
	v_and_b32_e32 v2, 7, v59
	v_and_b32_e32 v58, 7, v60
	;; [unrolled: 1-line block ×3, first 2 shown]
	v_lshrrev_b32_e32 v49, 2, v49
	v_cndmask_b32_e32 v52, 0x7c00, v52, vcc_lo
	s_or_b32 vcc_lo, s14, s13
	v_cmp_lt_i32_e64 s15, 5, v2
	v_add_co_ci_u32_e32 v54, vcc_lo, 0, v54, vcc_lo
	v_cmp_eq_u32_e64 s16, 3, v2
	v_cmp_gt_i32_e32 vcc_lo, 31, v35
	v_cmp_lt_i32_e64 s21, 5, v58
	v_cmp_eq_u32_e64 s22, 3, v58
	v_lshrrev_b32_e32 v58, 2, v59
	v_cmp_lt_i32_e64 s17, 5, v5
	v_cndmask_b32_e32 v46, 0x7c00, v46, vcc_lo
	s_or_b32 vcc_lo, s16, s15
	v_cmp_eq_u32_e64 s18, 3, v5
	v_add_co_ci_u32_e32 v58, vcc_lo, 0, v58, vcc_lo
	v_cmp_gt_i32_e32 vcc_lo, 31, v37
	v_and_b32_e32 v4, 7, v47
	v_add_co_u32 v2, s19, v30, s23
	v_add_co_ci_u32_e64 v3, s19, s24, v31, s19
	v_cndmask_b32_e32 v42, 0x7c00, v42, vcc_lo
	s_or_b32 vcc_lo, s18, s17
	v_cmp_lt_i32_e64 s19, 5, v4
	v_add_co_ci_u32_e32 v49, vcc_lo, 0, v49, vcc_lo
	v_cmp_eq_u32_e64 s20, 3, v4
	v_cmp_gt_i32_e32 vcc_lo, 31, v39
	v_lshrrev_b32_e32 v47, 2, v47
	v_lshrrev_b32_e32 v59, 2, v60
	v_add_co_u32 v4, s23, v2, s23
	v_cndmask_b32_e32 v12, 0x7c00, v12, vcc_lo
	s_or_b32 vcc_lo, s20, s19
	v_add_co_ci_u32_e64 v5, s23, s24, v3, s23
	v_add_co_ci_u32_e32 v47, vcc_lo, 0, v47, vcc_lo
	v_cmp_gt_i32_e32 vcc_lo, 31, v41
	v_cmp_ne_u32_e64 s23, 0, v32
	v_cndmask_b32_e32 v38, 0x7c00, v38, vcc_lo
	s_or_b32 vcc_lo, s22, s21
	v_cndmask_b32_e64 v32, 0, 1, s23
	v_add_co_ci_u32_e32 v59, vcc_lo, 0, v59, vcc_lo
	v_cmp_gt_i32_e32 vcc_lo, 31, v43
	v_cmp_ne_u32_e64 s23, 0, v57
	v_lshl_or_b32 v32, v32, 9, 0x7c00
	v_cndmask_b32_e32 v44, 0x7c00, v44, vcc_lo
	v_cmp_gt_i32_e32 vcc_lo, 31, v45
	v_cndmask_b32_e64 v57, 0, 1, s23
	v_cmp_ne_u32_e64 s23, 0, v6
	v_cndmask_b32_e32 v55, 0x7c00, v55, vcc_lo
	v_cmp_eq_u32_e32 vcc_lo, 0x40f, v33
	v_lshl_or_b32 v57, v57, 9, 0x7c00
	v_cndmask_b32_e64 v6, 0, 1, s23
	v_cmp_ne_u32_e64 s23, 0, v8
	v_cndmask_b32_e32 v32, v52, v32, vcc_lo
	v_cmp_gt_i32_e32 vcc_lo, 31, v48
	v_lshl_or_b32 v6, v6, 9, 0x7c00
	v_cndmask_b32_e64 v8, 0, 1, s23
	v_cmp_ne_u32_e64 s23, 0, v40
	v_and_or_b32 v32, 0x8000, v34, v32
	v_cndmask_b32_e32 v33, 0x7c00, v54, vcc_lo
	v_cmp_eq_u32_e32 vcc_lo, 0x40f, v35
	v_lshl_or_b32 v8, v8, 9, 0x7c00
	v_cndmask_b32_e64 v40, 0, 1, s23
	v_cmp_ne_u32_e64 s23, 0, v10
	v_cndmask_b32_e32 v35, v46, v57, vcc_lo
	v_cmp_gt_i32_e32 vcc_lo, 31, v51
	v_lshl_or_b32 v40, v40, 9, 0x7c00
	v_cndmask_b32_e64 v10, 0, 1, s23
	v_cmp_ne_u32_e64 s23, 0, v14
	v_cndmask_b32_e32 v46, 0x7c00, v58, vcc_lo
	v_cmp_eq_u32_e32 vcc_lo, 0x40f, v37
	v_lshl_or_b32 v10, v10, 9, 0x7c00
	v_cndmask_b32_e64 v14, 0, 1, s23
	v_cmp_ne_u32_e64 s23, 0, v16
	v_cndmask_b32_e32 v6, v42, v6, vcc_lo
	v_cmp_gt_i32_e32 vcc_lo, 31, v53
	v_lshl_or_b32 v14, v14, 9, 0x7c00
	v_cndmask_b32_e64 v16, 0, 1, s23
	v_cmp_ne_u32_e64 s23, 0, v18
	v_and_or_b32 v6, 0x8000, v7, v6
	v_cndmask_b32_e32 v37, 0x7c00, v49, vcc_lo
	v_cmp_eq_u32_e32 vcc_lo, 0x40f, v39
	v_lshl_or_b32 v16, v16, 9, 0x7c00
	v_cndmask_b32_e64 v18, 0, 1, s23
	v_cmp_ne_u32_e64 s23, 0, v20
	v_cndmask_b32_e32 v8, v12, v8, vcc_lo
	v_cmp_gt_i32_e32 vcc_lo, 31, v56
	v_lshl_or_b32 v18, v18, 9, 0x7c00
	v_cndmask_b32_e64 v20, 0, 1, s23
	v_cmp_ne_u32_e64 s23, 0, v22
	v_and_or_b32 v8, 0x8000, v9, v8
	v_cndmask_b32_e32 v12, 0x7c00, v47, vcc_lo
	v_cmp_eq_u32_e32 vcc_lo, 0x40f, v41
	v_lshl_or_b32 v20, v20, 9, 0x7c00
	v_cndmask_b32_e64 v22, 0, 1, s23
	v_cmp_ne_u32_e64 s23, 0, v24
	v_cndmask_b32_e32 v38, v38, v40, vcc_lo
	v_cmp_gt_i32_e32 vcc_lo, 31, v50
	v_lshl_or_b32 v22, v22, 9, 0x7c00
	v_cndmask_b32_e64 v24, 0, 1, s23
	v_and_or_b32 v11, 0x8000, v11, v38
	v_cndmask_b32_e32 v39, 0x7c00, v59, vcc_lo
	v_cmp_eq_u32_e32 vcc_lo, 0x40f, v43
	v_lshl_or_b32 v24, v24, 9, 0x7c00
	v_cndmask_b32_e32 v10, v44, v10, vcc_lo
	v_cmp_eq_u32_e32 vcc_lo, 0x40f, v45
	v_and_or_b32 v10, 0x8000, v13, v10
	v_cndmask_b32_e32 v14, v55, v14, vcc_lo
	v_cmp_eq_u32_e32 vcc_lo, 0x40f, v48
	v_and_or_b32 v13, 0x8000, v15, v14
	;; [unrolled: 3-line block ×3, first 2 shown]
	v_and_b32_e32 v13, 0xffff, v13
	v_and_or_b32 v14, 0x8000, v17, v16
	v_cndmask_b32_e32 v18, v46, v18, vcc_lo
	v_cmp_eq_u32_e32 vcc_lo, 0x40f, v53
	v_lshl_or_b32 v13, v32, 16, v13
	v_and_b32_e32 v14, 0xffff, v14
	v_and_or_b32 v15, 0x8000, v19, v18
	v_cndmask_b32_e32 v7, v37, v20, vcc_lo
	v_cmp_eq_u32_e32 vcc_lo, 0x40f, v56
	v_lshl_or_b32 v14, v33, 16, v14
	v_and_b32_e32 v15, 0xffff, v15
	v_and_or_b32 v7, 0x8000, v21, v7
	v_cndmask_b32_e32 v9, v12, v22, vcc_lo
	v_cmp_eq_u32_e32 vcc_lo, 0x40f, v50
	v_lshl_or_b32 v6, v6, 16, v15
	v_and_b32_e32 v7, 0xffff, v7
	v_and_or_b32 v9, 0x8000, v23, v9
	v_cndmask_b32_e32 v12, v39, v24, vcc_lo
	v_lshl_or_b32 v7, v8, 16, v7
	v_and_b32_e32 v9, 0xffff, v9
	v_and_or_b32 v12, 0x8000, v25, v12
	v_lshl_or_b32 v8, v11, 16, v9
	v_and_b32_e32 v12, 0xffff, v12
	v_lshl_or_b32 v9, v10, 16, v12
	global_store_dword v[0:1], v13, off
	global_store_dword v[26:27], v14, off
	;; [unrolled: 1-line block ×6, first 2 shown]
.LBB0_2:
	s_endpgm
	.section	.rodata,"a",@progbits
	.p2align	6, 0x0
	.amdhsa_kernel bluestein_single_back_len1458_dim1_half_op_CI_CI
		.amdhsa_group_segment_fixed_size 5832
		.amdhsa_private_segment_fixed_size 0
		.amdhsa_kernarg_size 104
		.amdhsa_user_sgpr_count 6
		.amdhsa_user_sgpr_private_segment_buffer 1
		.amdhsa_user_sgpr_dispatch_ptr 0
		.amdhsa_user_sgpr_queue_ptr 0
		.amdhsa_user_sgpr_kernarg_segment_ptr 1
		.amdhsa_user_sgpr_dispatch_id 0
		.amdhsa_user_sgpr_flat_scratch_init 0
		.amdhsa_user_sgpr_private_segment_size 0
		.amdhsa_wavefront_size32 1
		.amdhsa_uses_dynamic_stack 0
		.amdhsa_system_sgpr_private_segment_wavefront_offset 0
		.amdhsa_system_sgpr_workgroup_id_x 1
		.amdhsa_system_sgpr_workgroup_id_y 0
		.amdhsa_system_sgpr_workgroup_id_z 0
		.amdhsa_system_sgpr_workgroup_info 0
		.amdhsa_system_vgpr_workitem_id 0
		.amdhsa_next_free_vgpr 61
		.amdhsa_next_free_sgpr 25
		.amdhsa_reserve_vcc 1
		.amdhsa_reserve_flat_scratch 0
		.amdhsa_float_round_mode_32 0
		.amdhsa_float_round_mode_16_64 0
		.amdhsa_float_denorm_mode_32 3
		.amdhsa_float_denorm_mode_16_64 3
		.amdhsa_dx10_clamp 1
		.amdhsa_ieee_mode 1
		.amdhsa_fp16_overflow 0
		.amdhsa_workgroup_processor_mode 1
		.amdhsa_memory_ordered 1
		.amdhsa_forward_progress 0
		.amdhsa_shared_vgpr_count 0
		.amdhsa_exception_fp_ieee_invalid_op 0
		.amdhsa_exception_fp_denorm_src 0
		.amdhsa_exception_fp_ieee_div_zero 0
		.amdhsa_exception_fp_ieee_overflow 0
		.amdhsa_exception_fp_ieee_underflow 0
		.amdhsa_exception_fp_ieee_inexact 0
		.amdhsa_exception_int_div_zero 0
	.end_amdhsa_kernel
	.text
.Lfunc_end0:
	.size	bluestein_single_back_len1458_dim1_half_op_CI_CI, .Lfunc_end0-bluestein_single_back_len1458_dim1_half_op_CI_CI
                                        ; -- End function
	.section	.AMDGPU.csdata,"",@progbits
; Kernel info:
; codeLenInByte = 10444
; NumSgprs: 27
; NumVgprs: 61
; ScratchSize: 0
; MemoryBound: 0
; FloatMode: 240
; IeeeMode: 1
; LDSByteSize: 5832 bytes/workgroup (compile time only)
; SGPRBlocks: 3
; VGPRBlocks: 7
; NumSGPRsForWavesPerEU: 27
; NumVGPRsForWavesPerEU: 61
; Occupancy: 16
; WaveLimiterHint : 1
; COMPUTE_PGM_RSRC2:SCRATCH_EN: 0
; COMPUTE_PGM_RSRC2:USER_SGPR: 6
; COMPUTE_PGM_RSRC2:TRAP_HANDLER: 0
; COMPUTE_PGM_RSRC2:TGID_X_EN: 1
; COMPUTE_PGM_RSRC2:TGID_Y_EN: 0
; COMPUTE_PGM_RSRC2:TGID_Z_EN: 0
; COMPUTE_PGM_RSRC2:TIDIG_COMP_CNT: 0
	.text
	.p2alignl 6, 3214868480
	.fill 48, 4, 3214868480
	.type	__hip_cuid_776d2c2c64dab4df,@object ; @__hip_cuid_776d2c2c64dab4df
	.section	.bss,"aw",@nobits
	.globl	__hip_cuid_776d2c2c64dab4df
__hip_cuid_776d2c2c64dab4df:
	.byte	0                               ; 0x0
	.size	__hip_cuid_776d2c2c64dab4df, 1

	.ident	"AMD clang version 19.0.0git (https://github.com/RadeonOpenCompute/llvm-project roc-6.4.0 25133 c7fe45cf4b819c5991fe208aaa96edf142730f1d)"
	.section	".note.GNU-stack","",@progbits
	.addrsig
	.addrsig_sym __hip_cuid_776d2c2c64dab4df
	.amdgpu_metadata
---
amdhsa.kernels:
  - .args:
      - .actual_access:  read_only
        .address_space:  global
        .offset:         0
        .size:           8
        .value_kind:     global_buffer
      - .actual_access:  read_only
        .address_space:  global
        .offset:         8
        .size:           8
        .value_kind:     global_buffer
      - .actual_access:  read_only
        .address_space:  global
        .offset:         16
        .size:           8
        .value_kind:     global_buffer
      - .actual_access:  read_only
        .address_space:  global
        .offset:         24
        .size:           8
        .value_kind:     global_buffer
      - .actual_access:  read_only
        .address_space:  global
        .offset:         32
        .size:           8
        .value_kind:     global_buffer
      - .offset:         40
        .size:           8
        .value_kind:     by_value
      - .address_space:  global
        .offset:         48
        .size:           8
        .value_kind:     global_buffer
      - .address_space:  global
        .offset:         56
        .size:           8
        .value_kind:     global_buffer
      - .address_space:  global
        .offset:         64
        .size:           8
        .value_kind:     global_buffer
      - .address_space:  global
        .offset:         72
        .size:           8
        .value_kind:     global_buffer
      - .offset:         80
        .size:           4
        .value_kind:     by_value
      - .address_space:  global
        .offset:         88
        .size:           8
        .value_kind:     global_buffer
      - .address_space:  global
        .offset:         96
        .size:           8
        .value_kind:     global_buffer
    .group_segment_fixed_size: 5832
    .kernarg_segment_align: 8
    .kernarg_segment_size: 104
    .language:       OpenCL C
    .language_version:
      - 2
      - 0
    .max_flat_workgroup_size: 243
    .name:           bluestein_single_back_len1458_dim1_half_op_CI_CI
    .private_segment_fixed_size: 0
    .sgpr_count:     27
    .sgpr_spill_count: 0
    .symbol:         bluestein_single_back_len1458_dim1_half_op_CI_CI.kd
    .uniform_work_group_size: 1
    .uses_dynamic_stack: false
    .vgpr_count:     61
    .vgpr_spill_count: 0
    .wavefront_size: 32
    .workgroup_processor_mode: 1
amdhsa.target:   amdgcn-amd-amdhsa--gfx1030
amdhsa.version:
  - 1
  - 2
...

	.end_amdgpu_metadata
